;; amdgpu-corpus repo=ROCm/rocFFT kind=compiled arch=gfx1201 opt=O3
	.text
	.amdgcn_target "amdgcn-amd-amdhsa--gfx1201"
	.amdhsa_code_object_version 6
	.protected	fft_rtc_back_len1309_factors_17_7_11_wgs_119_tpt_119_halfLds_sp_op_CI_CI_unitstride_sbrr_dirReg ; -- Begin function fft_rtc_back_len1309_factors_17_7_11_wgs_119_tpt_119_halfLds_sp_op_CI_CI_unitstride_sbrr_dirReg
	.globl	fft_rtc_back_len1309_factors_17_7_11_wgs_119_tpt_119_halfLds_sp_op_CI_CI_unitstride_sbrr_dirReg
	.p2align	8
	.type	fft_rtc_back_len1309_factors_17_7_11_wgs_119_tpt_119_halfLds_sp_op_CI_CI_unitstride_sbrr_dirReg,@function
fft_rtc_back_len1309_factors_17_7_11_wgs_119_tpt_119_halfLds_sp_op_CI_CI_unitstride_sbrr_dirReg: ; @fft_rtc_back_len1309_factors_17_7_11_wgs_119_tpt_119_halfLds_sp_op_CI_CI_unitstride_sbrr_dirReg
; %bb.0:
	s_clause 0x2
	s_load_b128 s[8:11], s[0:1], 0x0
	s_load_b128 s[4:7], s[0:1], 0x58
	;; [unrolled: 1-line block ×3, first 2 shown]
	v_mul_u32_u24_e32 v1, 0x227, v0
	v_mov_b32_e32 v11, 0
	v_mov_b32_e32 v12, 0
	s_delay_alu instid0(VALU_DEP_3) | instskip(NEXT) | instid1(VALU_DEP_1)
	v_lshrrev_b32_e32 v1, 16, v1
	v_dual_mov_b32 v3, 0 :: v_dual_add_nc_u32 v6, ttmp9, v1
	s_delay_alu instid0(VALU_DEP_1) | instskip(SKIP_2) | instid1(VALU_DEP_1)
	v_mov_b32_e32 v7, v3
	s_wait_kmcnt 0x0
	v_cmp_lt_u64_e64 s2, s[10:11], 2
	s_and_b32 vcc_lo, exec_lo, s2
	s_cbranch_vccnz .LBB0_8
; %bb.1:
	s_load_b64 s[2:3], s[0:1], 0x10
	v_mov_b32_e32 v11, 0
	v_mov_b32_e32 v12, 0
	s_delay_alu instid0(VALU_DEP_2)
	v_mov_b32_e32 v1, v11
	s_add_nc_u64 s[16:17], s[14:15], 8
	s_add_nc_u64 s[18:19], s[12:13], 8
	s_mov_b64 s[20:21], 1
	v_mov_b32_e32 v2, v12
	s_wait_kmcnt 0x0
	s_add_nc_u64 s[22:23], s[2:3], 8
	s_mov_b32 s3, 0
.LBB0_2:                                ; =>This Inner Loop Header: Depth=1
	s_load_b64 s[24:25], s[22:23], 0x0
	s_wait_kmcnt 0x0
	s_delay_alu instid0(VALU_DEP_1) | instskip(NEXT) | instid1(VALU_DEP_1)
	v_or_b32_e32 v4, s25, v7
	v_cmp_ne_u64_e32 vcc_lo, 0, v[3:4]
                                        ; implicit-def: $vgpr4_vgpr5
	s_and_saveexec_b32 s2, vcc_lo
	s_wait_alu 0xfffe
	s_xor_b32 s26, exec_lo, s2
	s_cbranch_execz .LBB0_4
; %bb.3:                                ;   in Loop: Header=BB0_2 Depth=1
	s_cvt_f32_u32 s2, s24
	s_cvt_f32_u32 s27, s25
	s_sub_nc_u64 s[30:31], 0, s[24:25]
	s_wait_alu 0xfffe
	s_delay_alu instid0(SALU_CYCLE_1) | instskip(SKIP_1) | instid1(SALU_CYCLE_2)
	s_fmamk_f32 s2, s27, 0x4f800000, s2
	s_wait_alu 0xfffe
	v_s_rcp_f32 s2, s2
	s_delay_alu instid0(TRANS32_DEP_1) | instskip(SKIP_1) | instid1(SALU_CYCLE_2)
	s_mul_f32 s2, s2, 0x5f7ffffc
	s_wait_alu 0xfffe
	s_mul_f32 s27, s2, 0x2f800000
	s_wait_alu 0xfffe
	s_delay_alu instid0(SALU_CYCLE_2) | instskip(SKIP_1) | instid1(SALU_CYCLE_2)
	s_trunc_f32 s27, s27
	s_wait_alu 0xfffe
	s_fmamk_f32 s2, s27, 0xcf800000, s2
	s_cvt_u32_f32 s29, s27
	s_wait_alu 0xfffe
	s_delay_alu instid0(SALU_CYCLE_1) | instskip(SKIP_1) | instid1(SALU_CYCLE_2)
	s_cvt_u32_f32 s28, s2
	s_wait_alu 0xfffe
	s_mul_u64 s[34:35], s[30:31], s[28:29]
	s_wait_alu 0xfffe
	s_mul_hi_u32 s37, s28, s35
	s_mul_i32 s36, s28, s35
	s_mul_hi_u32 s2, s28, s34
	s_mul_i32 s33, s29, s34
	s_wait_alu 0xfffe
	s_add_nc_u64 s[36:37], s[2:3], s[36:37]
	s_mul_hi_u32 s27, s29, s34
	s_mul_hi_u32 s38, s29, s35
	s_add_co_u32 s2, s36, s33
	s_wait_alu 0xfffe
	s_add_co_ci_u32 s2, s37, s27
	s_mul_i32 s34, s29, s35
	s_add_co_ci_u32 s35, s38, 0
	s_wait_alu 0xfffe
	s_add_nc_u64 s[34:35], s[2:3], s[34:35]
	s_wait_alu 0xfffe
	v_add_co_u32 v4, s2, s28, s34
	s_delay_alu instid0(VALU_DEP_1) | instskip(SKIP_1) | instid1(VALU_DEP_1)
	s_cmp_lg_u32 s2, 0
	s_add_co_ci_u32 s29, s29, s35
	v_readfirstlane_b32 s28, v4
	s_wait_alu 0xfffe
	s_delay_alu instid0(VALU_DEP_1)
	s_mul_u64 s[30:31], s[30:31], s[28:29]
	s_wait_alu 0xfffe
	s_mul_hi_u32 s35, s28, s31
	s_mul_i32 s34, s28, s31
	s_mul_hi_u32 s2, s28, s30
	s_mul_i32 s33, s29, s30
	s_wait_alu 0xfffe
	s_add_nc_u64 s[34:35], s[2:3], s[34:35]
	s_mul_hi_u32 s27, s29, s30
	s_mul_hi_u32 s28, s29, s31
	s_wait_alu 0xfffe
	s_add_co_u32 s2, s34, s33
	s_add_co_ci_u32 s2, s35, s27
	s_mul_i32 s30, s29, s31
	s_add_co_ci_u32 s31, s28, 0
	s_wait_alu 0xfffe
	s_add_nc_u64 s[30:31], s[2:3], s[30:31]
	s_wait_alu 0xfffe
	v_add_co_u32 v8, s2, v4, s30
	s_delay_alu instid0(VALU_DEP_1) | instskip(SKIP_1) | instid1(VALU_DEP_1)
	s_cmp_lg_u32 s2, 0
	s_add_co_ci_u32 s2, s29, s31
	v_mul_hi_u32 v10, v6, v8
	s_wait_alu 0xfffe
	v_mad_co_u64_u32 v[4:5], null, v6, s2, 0
	v_mad_co_u64_u32 v[8:9], null, v7, v8, 0
	;; [unrolled: 1-line block ×3, first 2 shown]
	s_delay_alu instid0(VALU_DEP_3) | instskip(SKIP_1) | instid1(VALU_DEP_4)
	v_add_co_u32 v4, vcc_lo, v10, v4
	s_wait_alu 0xfffd
	v_add_co_ci_u32_e32 v5, vcc_lo, 0, v5, vcc_lo
	s_delay_alu instid0(VALU_DEP_2) | instskip(SKIP_1) | instid1(VALU_DEP_2)
	v_add_co_u32 v4, vcc_lo, v4, v8
	s_wait_alu 0xfffd
	v_add_co_ci_u32_e32 v4, vcc_lo, v5, v9, vcc_lo
	s_wait_alu 0xfffd
	v_add_co_ci_u32_e32 v5, vcc_lo, 0, v14, vcc_lo
	s_delay_alu instid0(VALU_DEP_2) | instskip(SKIP_1) | instid1(VALU_DEP_2)
	v_add_co_u32 v8, vcc_lo, v4, v13
	s_wait_alu 0xfffd
	v_add_co_ci_u32_e32 v9, vcc_lo, 0, v5, vcc_lo
	s_delay_alu instid0(VALU_DEP_2) | instskip(SKIP_1) | instid1(VALU_DEP_3)
	v_mul_lo_u32 v10, s25, v8
	v_mad_co_u64_u32 v[4:5], null, s24, v8, 0
	v_mul_lo_u32 v13, s24, v9
	s_delay_alu instid0(VALU_DEP_2) | instskip(NEXT) | instid1(VALU_DEP_2)
	v_sub_co_u32 v4, vcc_lo, v6, v4
	v_add3_u32 v5, v5, v13, v10
	s_delay_alu instid0(VALU_DEP_1) | instskip(SKIP_1) | instid1(VALU_DEP_1)
	v_sub_nc_u32_e32 v10, v7, v5
	s_wait_alu 0xfffd
	v_subrev_co_ci_u32_e64 v10, s2, s25, v10, vcc_lo
	v_add_co_u32 v13, s2, v8, 2
	s_wait_alu 0xf1ff
	v_add_co_ci_u32_e64 v14, s2, 0, v9, s2
	v_sub_co_u32 v15, s2, v4, s24
	v_sub_co_ci_u32_e32 v5, vcc_lo, v7, v5, vcc_lo
	s_wait_alu 0xf1ff
	v_subrev_co_ci_u32_e64 v10, s2, 0, v10, s2
	s_delay_alu instid0(VALU_DEP_3) | instskip(NEXT) | instid1(VALU_DEP_3)
	v_cmp_le_u32_e32 vcc_lo, s24, v15
	v_cmp_eq_u32_e64 s2, s25, v5
	s_wait_alu 0xfffd
	v_cndmask_b32_e64 v15, 0, -1, vcc_lo
	v_cmp_le_u32_e32 vcc_lo, s25, v10
	s_wait_alu 0xfffd
	v_cndmask_b32_e64 v16, 0, -1, vcc_lo
	v_cmp_le_u32_e32 vcc_lo, s24, v4
	;; [unrolled: 3-line block ×3, first 2 shown]
	s_wait_alu 0xfffd
	v_cndmask_b32_e64 v17, 0, -1, vcc_lo
	v_cmp_eq_u32_e32 vcc_lo, s25, v10
	s_wait_alu 0xf1ff
	s_delay_alu instid0(VALU_DEP_2)
	v_cndmask_b32_e64 v4, v17, v4, s2
	s_wait_alu 0xfffd
	v_cndmask_b32_e32 v10, v16, v15, vcc_lo
	v_add_co_u32 v15, vcc_lo, v8, 1
	s_wait_alu 0xfffd
	v_add_co_ci_u32_e32 v16, vcc_lo, 0, v9, vcc_lo
	s_delay_alu instid0(VALU_DEP_3) | instskip(SKIP_1) | instid1(VALU_DEP_2)
	v_cmp_ne_u32_e32 vcc_lo, 0, v10
	s_wait_alu 0xfffd
	v_dual_cndmask_b32 v5, v16, v14 :: v_dual_cndmask_b32 v10, v15, v13
	v_cmp_ne_u32_e32 vcc_lo, 0, v4
	s_wait_alu 0xfffd
	s_delay_alu instid0(VALU_DEP_2)
	v_dual_cndmask_b32 v5, v9, v5 :: v_dual_cndmask_b32 v4, v8, v10
.LBB0_4:                                ;   in Loop: Header=BB0_2 Depth=1
	s_wait_alu 0xfffe
	s_and_not1_saveexec_b32 s2, s26
	s_cbranch_execz .LBB0_6
; %bb.5:                                ;   in Loop: Header=BB0_2 Depth=1
	v_cvt_f32_u32_e32 v4, s24
	s_sub_co_i32 s26, 0, s24
	s_delay_alu instid0(VALU_DEP_1) | instskip(NEXT) | instid1(TRANS32_DEP_1)
	v_rcp_iflag_f32_e32 v4, v4
	v_mul_f32_e32 v4, 0x4f7ffffe, v4
	s_delay_alu instid0(VALU_DEP_1) | instskip(SKIP_1) | instid1(VALU_DEP_1)
	v_cvt_u32_f32_e32 v4, v4
	s_wait_alu 0xfffe
	v_mul_lo_u32 v5, s26, v4
	s_delay_alu instid0(VALU_DEP_1) | instskip(NEXT) | instid1(VALU_DEP_1)
	v_mul_hi_u32 v5, v4, v5
	v_add_nc_u32_e32 v4, v4, v5
	s_delay_alu instid0(VALU_DEP_1) | instskip(NEXT) | instid1(VALU_DEP_1)
	v_mul_hi_u32 v4, v6, v4
	v_mul_lo_u32 v5, v4, s24
	v_add_nc_u32_e32 v8, 1, v4
	s_delay_alu instid0(VALU_DEP_2) | instskip(NEXT) | instid1(VALU_DEP_1)
	v_sub_nc_u32_e32 v5, v6, v5
	v_subrev_nc_u32_e32 v9, s24, v5
	v_cmp_le_u32_e32 vcc_lo, s24, v5
	s_wait_alu 0xfffd
	s_delay_alu instid0(VALU_DEP_2) | instskip(NEXT) | instid1(VALU_DEP_1)
	v_dual_cndmask_b32 v5, v5, v9 :: v_dual_cndmask_b32 v4, v4, v8
	v_cmp_le_u32_e32 vcc_lo, s24, v5
	s_delay_alu instid0(VALU_DEP_2) | instskip(SKIP_1) | instid1(VALU_DEP_1)
	v_dual_mov_b32 v5, v3 :: v_dual_add_nc_u32 v8, 1, v4
	s_wait_alu 0xfffd
	v_cndmask_b32_e32 v4, v4, v8, vcc_lo
.LBB0_6:                                ;   in Loop: Header=BB0_2 Depth=1
	s_wait_alu 0xfffe
	s_or_b32 exec_lo, exec_lo, s2
	v_mul_lo_u32 v10, v5, s24
	s_delay_alu instid0(VALU_DEP_2)
	v_mul_lo_u32 v13, v4, s25
	s_load_b64 s[26:27], s[18:19], 0x0
	v_mad_co_u64_u32 v[8:9], null, v4, s24, 0
	s_load_b64 s[24:25], s[16:17], 0x0
	s_add_nc_u64 s[20:21], s[20:21], 1
	s_add_nc_u64 s[16:17], s[16:17], 8
	s_wait_alu 0xfffe
	v_cmp_ge_u64_e64 s2, s[20:21], s[10:11]
	s_add_nc_u64 s[18:19], s[18:19], 8
	s_add_nc_u64 s[22:23], s[22:23], 8
	v_add3_u32 v9, v9, v13, v10
	v_sub_co_u32 v6, vcc_lo, v6, v8
	s_wait_alu 0xfffd
	s_delay_alu instid0(VALU_DEP_2) | instskip(SKIP_2) | instid1(VALU_DEP_1)
	v_sub_co_ci_u32_e32 v7, vcc_lo, v7, v9, vcc_lo
	s_and_b32 vcc_lo, exec_lo, s2
	s_wait_kmcnt 0x0
	v_mul_lo_u32 v8, s26, v7
	v_mul_lo_u32 v9, s27, v6
	v_mad_co_u64_u32 v[11:12], null, s26, v6, v[11:12]
	v_mul_lo_u32 v7, s24, v7
	v_mul_lo_u32 v10, s25, v6
	v_mad_co_u64_u32 v[1:2], null, s24, v6, v[1:2]
	s_delay_alu instid0(VALU_DEP_4) | instskip(NEXT) | instid1(VALU_DEP_2)
	v_add3_u32 v12, v9, v12, v8
	v_add3_u32 v2, v10, v2, v7
	s_wait_alu 0xfffe
	s_cbranch_vccnz .LBB0_9
; %bb.7:                                ;   in Loop: Header=BB0_2 Depth=1
	v_dual_mov_b32 v7, v5 :: v_dual_mov_b32 v6, v4
	s_branch .LBB0_2
.LBB0_8:
	v_dual_mov_b32 v1, v11 :: v_dual_mov_b32 v2, v12
	v_dual_mov_b32 v4, v6 :: v_dual_mov_b32 v5, v7
.LBB0_9:
	s_load_b64 s[0:1], s[0:1], 0x28
	s_lshl_b64 s[10:11], s[10:11], 3
	v_mul_hi_u32 v3, 0x226b903, v0
	s_wait_alu 0xfffe
	s_add_nc_u64 s[2:3], s[14:15], s[10:11]
	v_mov_b32_e32 v10, 0
	s_load_b64 s[2:3], s[2:3], 0x0
	v_mov_b32_e32 v9, 0
                                        ; implicit-def: $vgpr46
                                        ; implicit-def: $vgpr44
                                        ; implicit-def: $vgpr42
                                        ; implicit-def: $vgpr40
                                        ; implicit-def: $vgpr38
                                        ; implicit-def: $vgpr36
                                        ; implicit-def: $vgpr34
                                        ; implicit-def: $vgpr32
                                        ; implicit-def: $vgpr26
                                        ; implicit-def: $vgpr22
                                        ; implicit-def: $vgpr16
                                        ; implicit-def: $vgpr18
                                        ; implicit-def: $vgpr20
                                        ; implicit-def: $vgpr24
                                        ; implicit-def: $vgpr28
                                        ; implicit-def: $vgpr30
	s_delay_alu instid0(VALU_DEP_3) | instskip(NEXT) | instid1(VALU_DEP_1)
	v_mul_u32_u24_e32 v3, 0x77, v3
	v_sub_nc_u32_e32 v6, v0, v3
	v_mov_b32_e32 v3, 0
	s_wait_kmcnt 0x0
	v_cmp_gt_u64_e32 vcc_lo, s[0:1], v[4:5]
	s_and_saveexec_b32 s1, vcc_lo
	s_cbranch_execz .LBB0_13
; %bb.10:
	v_dual_mov_b32 v9, 0 :: v_dual_mov_b32 v10, 0
	s_mov_b32 s14, exec_lo
                                        ; implicit-def: $vgpr29
                                        ; implicit-def: $vgpr27
                                        ; implicit-def: $vgpr23
                                        ; implicit-def: $vgpr19
                                        ; implicit-def: $vgpr17
                                        ; implicit-def: $vgpr15
                                        ; implicit-def: $vgpr21
                                        ; implicit-def: $vgpr25
                                        ; implicit-def: $vgpr31
                                        ; implicit-def: $vgpr33
                                        ; implicit-def: $vgpr35
                                        ; implicit-def: $vgpr37
                                        ; implicit-def: $vgpr39
                                        ; implicit-def: $vgpr41
                                        ; implicit-def: $vgpr43
                                        ; implicit-def: $vgpr45
	v_cmpx_gt_u32_e32 0x4d, v6
	s_cbranch_execz .LBB0_12
; %bb.11:
	s_add_nc_u64 s[10:11], s[12:13], s[10:11]
	v_lshlrev_b64_e32 v[10:11], 3, v[11:12]
	s_load_b64 s[10:11], s[10:11], 0x0
	s_wait_kmcnt 0x0
	v_mul_lo_u32 v0, s11, v4
	v_mul_lo_u32 v3, s10, v5
	v_mad_co_u64_u32 v[7:8], null, s10, v4, 0
	s_delay_alu instid0(VALU_DEP_1) | instskip(NEXT) | instid1(VALU_DEP_1)
	v_add3_u32 v8, v8, v3, v0
	v_lshlrev_b64_e32 v[8:9], 3, v[7:8]
	v_mov_b32_e32 v7, 0
	s_delay_alu instid0(VALU_DEP_2) | instskip(SKIP_1) | instid1(VALU_DEP_3)
	v_add_co_u32 v0, s0, s4, v8
	s_wait_alu 0xf1ff
	v_add_co_ci_u32_e64 v3, s0, s5, v9, s0
	s_delay_alu instid0(VALU_DEP_3) | instskip(NEXT) | instid1(VALU_DEP_3)
	v_lshlrev_b64_e32 v[7:8], 3, v[6:7]
	v_add_co_u32 v0, s0, v0, v10
	s_wait_alu 0xf1ff
	s_delay_alu instid0(VALU_DEP_3) | instskip(NEXT) | instid1(VALU_DEP_2)
	v_add_co_ci_u32_e64 v3, s0, v3, v11, s0
	v_add_co_u32 v7, s0, v0, v7
	s_wait_alu 0xf1ff
	s_delay_alu instid0(VALU_DEP_2)
	v_add_co_ci_u32_e64 v8, s0, v3, v8, s0
	s_clause 0x10
	global_load_b64 v[9:10], v[7:8], off
	global_load_b64 v[45:46], v[7:8], off offset:616
	global_load_b64 v[43:44], v[7:8], off offset:1232
	;; [unrolled: 1-line block ×16, first 2 shown]
.LBB0_12:
	s_or_b32 exec_lo, exec_lo, s14
	v_mov_b32_e32 v3, v6
.LBB0_13:
	s_wait_alu 0xfffe
	s_or_b32 exec_lo, exec_lo, s1
	s_wait_loadcnt 0x0
	v_dual_sub_f32 v47, v46, v16 :: v_dual_add_f32 v48, v45, v15
	v_sub_f32_e32 v49, v44, v18
	v_cmp_gt_u32_e64 s1, 0x4d, v6
	v_add_f32_e32 v50, v43, v17
	s_delay_alu instid0(VALU_DEP_4)
	v_mul_f32_e32 v66, 0xbf763a35, v47
	v_mul_f32_e32 v63, 0xbf7ee86f, v47
	;; [unrolled: 1-line block ×5, first 2 shown]
	v_fma_f32 v11, 0xbe8c1d8e, v48, -v66
	v_fma_f32 v8, 0x3dbcf732, v48, -v63
	v_fmamk_f32 v13, v48, 0xbf59a7d5, v0
	v_mul_f32_e32 v54, 0x3eb8f4ab, v49
	v_fma_f32 v12, 0xbf1a4643, v48, -v71
	v_dual_add_f32 v11, v9, v11 :: v_dual_fmamk_f32 v14, v48, 0xbf7ba420, v7
	v_mul_f32_e32 v67, 0x3f06c442, v49
	v_fma_f32 v7, 0xbf7ba420, v48, -v7
	v_mul_f32_e32 v64, 0xbe3c28d5, v49
	v_add_f32_e32 v8, v9, v8
	v_add_f32_e32 v13, v9, v13
	v_fma_f32 v0, 0xbf59a7d5, v48, -v0
	v_add_f32_e32 v7, v9, v7
	v_add_f32_e32 v14, v9, v14
	v_fma_f32 v51, 0xbf7ba420, v50, -v64
	v_fma_f32 v52, 0xbf59a7d5, v50, -v67
	v_mul_f32_e32 v72, 0x3f763a35, v49
	v_dual_mul_f32 v53, 0x3f65296c, v49 :: v_dual_add_f32 v12, v9, v12
	s_delay_alu instid0(VALU_DEP_4)
	v_add_f32_e32 v8, v8, v51
	v_add_f32_e32 v0, v9, v0
	;; [unrolled: 1-line block ×3, first 2 shown]
	v_fma_f32 v51, 0xbe8c1d8e, v50, -v72
	v_fmamk_f32 v52, v50, 0x3ee437d1, v53
	v_fma_f32 v53, 0x3ee437d1, v50, -v53
	s_delay_alu instid0(VALU_DEP_3) | instskip(NEXT) | instid1(VALU_DEP_2)
	v_dual_add_f32 v12, v12, v51 :: v_dual_sub_f32 v51, v42, v20
	v_dual_fmamk_f32 v55, v50, 0x3f6eb680, v54 :: v_dual_add_f32 v0, v0, v53
	v_fma_f32 v53, 0x3f6eb680, v50, -v54
	s_delay_alu instid0(VALU_DEP_3) | instskip(SKIP_1) | instid1(VALU_DEP_3)
	v_mul_f32_e32 v73, 0xbeb8f4ab, v51
	v_mul_f32_e32 v65, 0x3f763a35, v51
	v_dual_mul_f32 v56, 0xbf7ee86f, v51 :: v_dual_add_f32 v7, v7, v53
	v_add_f32_e32 v13, v13, v52
	v_add_f32_e32 v52, v41, v19
	s_delay_alu instid0(VALU_DEP_1) | instskip(NEXT) | instid1(VALU_DEP_1)
	v_fma_f32 v53, 0x3f6eb680, v52, -v73
	v_dual_mul_f32 v69, 0x3f2c7751, v51 :: v_dual_add_f32 v12, v12, v53
	v_sub_f32_e32 v53, v40, v24
	v_fma_f32 v54, 0xbe8c1d8e, v52, -v65
	s_delay_alu instid0(VALU_DEP_2) | instskip(NEXT) | instid1(VALU_DEP_2)
	v_mul_f32_e32 v74, 0xbf65296c, v53
	v_add_f32_e32 v8, v8, v54
	v_fmamk_f32 v54, v52, 0x3dbcf732, v56
	v_add_f32_e32 v14, v14, v55
	v_fma_f32 v55, 0x3f3d2fb0, v52, -v69
	s_delay_alu instid0(VALU_DEP_1) | instskip(SKIP_1) | instid1(VALU_DEP_1)
	v_dual_mul_f32 v68, 0x3eb8f4ab, v53 :: v_dual_add_f32 v11, v11, v55
	v_mul_f32_e32 v55, 0xbf06c442, v51
	v_fmamk_f32 v57, v52, 0xbf59a7d5, v55
	v_fma_f32 v55, 0xbf59a7d5, v52, -v55
	s_delay_alu instid0(VALU_DEP_1) | instskip(SKIP_3) | instid1(VALU_DEP_2)
	v_add_f32_e32 v7, v7, v55
	v_dual_add_f32 v13, v13, v54 :: v_dual_add_f32 v54, v39, v23
	v_mul_f32_e32 v78, 0xbf06c442, v53
	v_add_f32_e32 v14, v14, v57
	v_fma_f32 v55, 0xbf59a7d5, v54, -v78
	s_delay_alu instid0(VALU_DEP_1) | instskip(SKIP_1) | instid1(VALU_DEP_1)
	v_dual_add_f32 v12, v12, v55 :: v_dual_sub_f32 v55, v38, v28
	v_fma_f32 v57, 0x3ee437d1, v54, -v74
	v_dual_mul_f32 v60, 0xbeb8f4ab, v55 :: v_dual_add_f32 v11, v11, v57
	v_fma_f32 v56, 0x3dbcf732, v52, -v56
	v_mul_f32_e32 v58, 0x3f4c4adb, v53
	v_mul_f32_e32 v57, 0x3f2c7751, v53
	s_delay_alu instid0(VALU_DEP_3) | instskip(SKIP_1) | instid1(VALU_DEP_3)
	v_dual_mul_f32 v81, 0x3f7ee86f, v55 :: v_dual_add_f32 v0, v0, v56
	v_fma_f32 v56, 0x3f6eb680, v54, -v68
	v_fmamk_f32 v59, v54, 0x3f3d2fb0, v57
	v_fma_f32 v57, 0x3f3d2fb0, v54, -v57
	s_delay_alu instid0(VALU_DEP_3) | instskip(NEXT) | instid1(VALU_DEP_2)
	v_add_f32_e32 v8, v8, v56
	v_dual_fmamk_f32 v56, v54, 0xbf1a4643, v58 :: v_dual_add_f32 v7, v7, v57
	v_mul_f32_e32 v77, 0xbe3c28d5, v55
	s_delay_alu instid0(VALU_DEP_2) | instskip(SKIP_3) | instid1(VALU_DEP_3)
	v_add_f32_e32 v13, v13, v56
	v_add_f32_e32 v56, v37, v27
	;; [unrolled: 1-line block ×3, first 2 shown]
	v_mul_f32_e32 v70, 0xbf65296c, v55
	v_fma_f32 v59, 0xbf7ba420, v56, -v77
	v_fma_f32 v57, 0x3dbcf732, v56, -v81
	s_delay_alu instid0(VALU_DEP_2) | instskip(SKIP_1) | instid1(VALU_DEP_3)
	v_add_f32_e32 v11, v11, v59
	v_fma_f32 v58, 0xbf1a4643, v54, -v58
	v_dual_mul_f32 v59, 0xbf4c4adb, v55 :: v_dual_add_f32 v12, v12, v57
	v_sub_f32_e32 v57, v36, v22
	s_delay_alu instid0(VALU_DEP_3) | instskip(SKIP_1) | instid1(VALU_DEP_4)
	v_add_f32_e32 v0, v0, v58
	v_fma_f32 v58, 0x3ee437d1, v56, -v70
	v_fmamk_f32 v61, v56, 0xbf1a4643, v59
	v_fma_f32 v59, 0xbf1a4643, v56, -v59
	s_delay_alu instid0(VALU_DEP_3) | instskip(NEXT) | instid1(VALU_DEP_2)
	v_add_f32_e32 v8, v8, v58
	v_dual_fmamk_f32 v58, v56, 0x3f6eb680, v60 :: v_dual_add_f32 v7, v7, v59
	v_mul_f32_e32 v80, 0x3f7ee86f, v57
	v_add_f32_e32 v14, v14, v61
	v_mul_f32_e32 v59, 0xbe3c28d5, v57
	s_delay_alu instid0(VALU_DEP_4) | instskip(NEXT) | instid1(VALU_DEP_1)
	v_dual_add_f32 v13, v13, v58 :: v_dual_add_f32 v58, v35, v21
	v_fma_f32 v61, 0x3dbcf732, v58, -v80
	s_delay_alu instid0(VALU_DEP_1) | instskip(SKIP_4) | instid1(VALU_DEP_2)
	v_dual_add_f32 v11, v61, v11 :: v_dual_fmamk_f32 v62, v58, 0xbf7ba420, v59
	v_fma_f32 v76, 0xbf7ba420, v58, -v59
	v_sub_f32_e32 v59, v34, v30
	v_fma_f32 v60, 0x3f6eb680, v56, -v60
	v_mul_f32_e32 v75, 0xbf06c442, v57
	v_dual_mul_f32 v85, 0xbe3c28d5, v59 :: v_dual_add_f32 v0, v0, v60
	s_delay_alu instid0(VALU_DEP_2) | instskip(SKIP_1) | instid1(VALU_DEP_3)
	v_fma_f32 v60, 0xbf59a7d5, v58, -v75
	v_mul_f32_e32 v83, 0xbf2c7751, v57
	v_dual_mul_f32 v61, 0x3f65296c, v57 :: v_dual_add_f32 v0, v76, v0
	s_delay_alu instid0(VALU_DEP_3) | instskip(NEXT) | instid1(VALU_DEP_3)
	v_add_f32_e32 v8, v60, v8
	v_fma_f32 v60, 0x3f3d2fb0, v58, -v83
	s_delay_alu instid0(VALU_DEP_3) | instskip(SKIP_2) | instid1(VALU_DEP_4)
	v_fmamk_f32 v79, v58, 0x3ee437d1, v61
	v_fma_f32 v61, 0x3ee437d1, v58, -v61
	v_mul_f32_e32 v76, 0x3f4c4adb, v59
	v_add_f32_e32 v12, v60, v12
	v_add_f32_e32 v60, v33, v29
	s_delay_alu instid0(VALU_DEP_4) | instskip(SKIP_1) | instid1(VALU_DEP_3)
	v_dual_add_f32 v7, v61, v7 :: v_dual_add_f32 v14, v79, v14
	v_mul_f32_e32 v79, 0x3f2c7751, v59
	v_fma_f32 v61, 0xbf7ba420, v60, -v85
	s_delay_alu instid0(VALU_DEP_1) | instskip(NEXT) | instid1(VALU_DEP_1)
	v_dual_mul_f32 v82, 0xbeb8f4ab, v59 :: v_dual_add_f32 v87, v12, v61
	v_fma_f32 v84, 0x3f6eb680, v60, -v82
	v_sub_f32_e32 v61, v32, v26
	v_fma_f32 v12, 0x3f3d2fb0, v60, -v79
	s_delay_alu instid0(VALU_DEP_3) | instskip(SKIP_2) | instid1(VALU_DEP_4)
	v_add_f32_e32 v11, v11, v84
	v_add_f32_e32 v13, v62, v13
	v_fma_f32 v62, 0xbf1a4643, v60, -v76
	v_dual_mul_f32 v84, 0xbf763a35, v59 :: v_dual_add_f32 v89, v0, v12
	s_delay_alu instid0(VALU_DEP_2) | instskip(SKIP_2) | instid1(VALU_DEP_4)
	v_add_f32_e32 v8, v8, v62
	v_fmamk_f32 v62, v60, 0x3f3d2fb0, v79
	v_mul_f32_e32 v79, 0x3f2c7751, v61
	v_fmamk_f32 v86, v60, 0xbe8c1d8e, v84
	v_fma_f32 v88, 0xbe8c1d8e, v60, -v84
	s_delay_alu instid0(VALU_DEP_4) | instskip(NEXT) | instid1(VALU_DEP_3)
	v_dual_add_f32 v13, v13, v62 :: v_dual_add_f32 v62, v31, v25
	v_add_f32_e32 v90, v14, v86
	v_mul_f32_e32 v14, 0xbf763a35, v61
	s_delay_alu instid0(VALU_DEP_4) | instskip(SKIP_2) | instid1(VALU_DEP_4)
	v_add_f32_e32 v88, v7, v88
	v_mul_f32_e32 v86, 0x3f65296c, v61
	v_fma_f32 v0, 0x3f3d2fb0, v62, -v79
	v_fmamk_f32 v91, v62, 0xbe8c1d8e, v14
	v_fma_f32 v14, 0xbe8c1d8e, v62, -v14
	s_delay_alu instid0(VALU_DEP_3) | instskip(SKIP_1) | instid1(VALU_DEP_3)
	v_add_f32_e32 v0, v0, v8
	v_mul_f32_e32 v8, 0x3f7ee86f, v61
	v_add_f32_e32 v14, v14, v89
	s_delay_alu instid0(VALU_DEP_2) | instskip(SKIP_2) | instid1(VALU_DEP_2)
	v_fma_f32 v93, 0x3dbcf732, v62, -v8
	v_mul_f32_e32 v84, 0xbf4c4adb, v61
	v_fmamk_f32 v92, v62, 0x3dbcf732, v8
	v_fma_f32 v7, 0xbf1a4643, v62, -v84
	s_delay_alu instid0(VALU_DEP_1) | instskip(SKIP_1) | instid1(VALU_DEP_1)
	v_add_f32_e32 v12, v7, v11
	v_fma_f32 v7, 0x3ee437d1, v62, -v86
	v_add_f32_e32 v11, v7, v87
	v_add_f32_e32 v7, v91, v13
	v_dual_add_f32 v13, v93, v88 :: v_dual_add_f32 v8, v92, v90
	s_and_saveexec_b32 s0, s1
	s_cbranch_execz .LBB0_15
; %bb.14:
	v_mul_f32_e32 v90, 0xbe8c1d8e, v48
	s_delay_alu instid0(VALU_DEP_1) | instskip(NEXT) | instid1(VALU_DEP_1)
	v_dual_mul_f32 v87, 0xbf1a4643, v48 :: v_dual_add_f32 v66, v66, v90
	v_dual_mul_f32 v88, 0xbe8c1d8e, v50 :: v_dual_add_f32 v71, v71, v87
	v_mul_f32_e32 v91, 0xbf59a7d5, v54
	s_delay_alu instid0(VALU_DEP_3) | instskip(NEXT) | instid1(VALU_DEP_3)
	v_dual_mul_f32 v93, 0x3dbcf732, v48 :: v_dual_add_f32 v66, v9, v66
	v_add_f32_e32 v72, v72, v88
	s_delay_alu instid0(VALU_DEP_3) | instskip(SKIP_1) | instid1(VALU_DEP_2)
	v_dual_mul_f32 v89, 0x3f6eb680, v52 :: v_dual_add_f32 v78, v78, v91
	v_dual_add_f32 v71, v9, v71 :: v_dual_mul_f32 v92, 0x3dbcf732, v56
	v_dual_mul_f32 v94, 0xbf7ba420, v50 :: v_dual_add_f32 v73, v73, v89
	v_mul_f32_e32 v87, 0xbf59a7d5, v50
	s_delay_alu instid0(VALU_DEP_3) | instskip(SKIP_2) | instid1(VALU_DEP_4)
	v_add_f32_e32 v71, v71, v72
	v_mul_f32_e32 v88, 0x3f3d2fb0, v52
	v_dual_mul_f32 v72, 0x3f3d2fb0, v58 :: v_dual_add_f32 v81, v81, v92
	v_add_f32_e32 v67, v67, v87
	s_delay_alu instid0(VALU_DEP_4) | instskip(NEXT) | instid1(VALU_DEP_3)
	v_add_f32_e32 v71, v71, v73
	v_dual_mul_f32 v89, 0x3f6eb680, v54 :: v_dual_add_f32 v72, v83, v72
	v_add_f32_e32 v64, v64, v94
	s_delay_alu instid0(VALU_DEP_3) | instskip(SKIP_2) | instid1(VALU_DEP_3)
	v_dual_add_f32 v66, v66, v67 :: v_dual_add_f32 v71, v71, v78
	v_mul_f32_e32 v78, 0xbf7ba420, v56
	v_mul_f32_e32 v67, 0x3ee437d1, v56
	v_add_f32_e32 v71, v71, v81
	s_delay_alu instid0(VALU_DEP_3) | instskip(NEXT) | instid1(VALU_DEP_2)
	v_add_f32_e32 v77, v77, v78
	v_dual_mul_f32 v78, 0x3f3d2fb0, v62 :: v_dual_add_f32 v71, v72, v71
	v_mul_f32_e32 v72, 0xbf7ba420, v60
	s_delay_alu instid0(VALU_DEP_1) | instskip(NEXT) | instid1(VALU_DEP_1)
	v_dual_mul_f32 v73, 0x3ee437d1, v54 :: v_dual_add_f32 v72, v85, v72
	v_add_f32_e32 v73, v74, v73
	v_add_f32_e32 v69, v69, v88
	v_mul_f32_e32 v95, 0xbe8c1d8e, v52
	v_dual_mul_f32 v74, 0x3dbcf732, v58 :: v_dual_add_f32 v63, v63, v93
	s_delay_alu instid0(VALU_DEP_3) | instskip(NEXT) | instid1(VALU_DEP_2)
	v_dual_mul_f32 v85, 0x3ee437d1, v62 :: v_dual_add_f32 v66, v66, v69
	v_dual_mul_f32 v81, 0xbf1a4643, v60 :: v_dual_add_f32 v74, v80, v74
	s_delay_alu instid0(VALU_DEP_2) | instskip(NEXT) | instid1(VALU_DEP_1)
	v_dual_add_f32 v66, v66, v73 :: v_dual_mul_f32 v69, 0xbf59a7d5, v58
	v_dual_mul_f32 v73, 0x3f6eb680, v60 :: v_dual_add_f32 v66, v66, v77
	s_delay_alu instid0(VALU_DEP_1) | instskip(SKIP_1) | instid1(VALU_DEP_1)
	v_dual_add_f32 v66, v74, v66 :: v_dual_add_f32 v71, v71, v72
	v_dual_mul_f32 v72, 0x3ee437d1, v48 :: v_dual_add_f32 v63, v9, v63
	v_dual_mul_f32 v74, 0x3f6eb680, v58 :: v_dual_add_f32 v63, v63, v64
	v_add_f32_e32 v64, v65, v95
	s_delay_alu instid0(VALU_DEP_1) | instskip(NEXT) | instid1(VALU_DEP_4)
	v_dual_add_f32 v63, v63, v64 :: v_dual_add_f32 v64, v68, v89
	v_fmamk_f32 v68, v47, 0x3f65296c, v72
	s_delay_alu instid0(VALU_DEP_2)
	v_dual_fmac_f32 v72, 0xbf65296c, v47 :: v_dual_add_f32 v63, v63, v64
	v_add_f32_e32 v64, v70, v67
	v_dual_add_f32 v65, v86, v85 :: v_dual_mul_f32 v70, 0xbf7ba420, v52
	v_add_f32_e32 v73, v82, v73
	v_mul_f32_e32 v83, 0xbf1a4643, v62
	v_add_f32_e32 v67, v9, v68
	v_add_f32_e32 v63, v63, v64
	;; [unrolled: 1-line block ×3, first 2 shown]
	s_delay_alu instid0(VALU_DEP_4) | instskip(SKIP_1) | instid1(VALU_DEP_2)
	v_dual_add_f32 v66, v66, v73 :: v_dual_add_f32 v73, v84, v83
	v_dual_mul_f32 v69, 0xbe8c1d8e, v54 :: v_dual_add_f32 v72, v9, v72
	v_add_f32_e32 v66, v73, v66
	v_add_f32_e32 v65, v65, v71
	v_mul_f32_e32 v71, 0xbf1a4643, v50
	s_delay_alu instid0(VALU_DEP_1) | instskip(NEXT) | instid1(VALU_DEP_1)
	v_fmamk_f32 v68, v49, 0x3f4c4adb, v71
	v_add_f32_e32 v67, v67, v68
	v_fmamk_f32 v68, v51, 0xbe3c28d5, v70
	v_fmac_f32_e32 v70, 0x3e3c28d5, v51
	s_delay_alu instid0(VALU_DEP_2) | instskip(SKIP_1) | instid1(VALU_DEP_1)
	v_dual_add_f32 v63, v64, v63 :: v_dual_add_f32 v64, v67, v68
	v_fmac_f32_e32 v71, 0xbf4c4adb, v49
	v_dual_mul_f32 v68, 0x3f3d2fb0, v56 :: v_dual_add_f32 v71, v72, v71
	v_fmamk_f32 v67, v53, 0xbf763a35, v69
	v_fmac_f32_e32 v69, 0x3f763a35, v53
	v_mul_f32_e32 v72, 0x3dbcf732, v60
	s_delay_alu instid0(VALU_DEP_4) | instskip(NEXT) | instid1(VALU_DEP_4)
	v_add_f32_e32 v70, v71, v70
	v_dual_add_f32 v64, v64, v67 :: v_dual_add_f32 v71, v79, v78
	s_delay_alu instid0(VALU_DEP_2) | instskip(SKIP_4) | instid1(VALU_DEP_3)
	v_add_f32_e32 v69, v70, v69
	v_fmamk_f32 v67, v55, 0xbf2c7751, v68
	v_fmac_f32_e32 v68, 0x3f2c7751, v55
	v_mul_f32_e32 v70, 0x3dbcf732, v50
	v_mul_f32_e32 v50, 0x3f3d2fb0, v50
	v_add_f32_e32 v68, v69, v68
	v_dual_add_f32 v64, v64, v67 :: v_dual_fmamk_f32 v67, v57, 0x3eb8f4ab, v74
	v_fmac_f32_e32 v74, 0xbeb8f4ab, v57
	s_delay_alu instid0(VALU_DEP_1) | instskip(NEXT) | instid1(VALU_DEP_3)
	v_dual_mul_f32 v69, 0xbf59a7d5, v62 :: v_dual_add_f32 v68, v74, v68
	v_dual_add_f32 v73, v76, v81 :: v_dual_add_f32 v64, v67, v64
	s_delay_alu instid0(VALU_DEP_2)
	v_fmamk_f32 v74, v61, 0x3f06c442, v69
	v_fmac_f32_e32 v69, 0xbf06c442, v61
	v_fmamk_f32 v67, v59, 0x3f7ee86f, v72
	v_fmac_f32_e32 v72, 0xbf7ee86f, v59
	v_mul_f32_e32 v76, 0xbf7ba420, v54
	v_mul_f32_e32 v54, 0x3dbcf732, v54
	s_delay_alu instid0(VALU_DEP_3) | instskip(SKIP_2) | instid1(VALU_DEP_3)
	v_add_f32_e32 v68, v68, v72
	v_mul_f32_e32 v72, 0xbf59a7d5, v56
	v_mul_f32_e32 v56, 0xbe8c1d8e, v56
	v_dual_add_f32 v68, v69, v68 :: v_dual_add_f32 v63, v63, v73
	v_dual_add_f32 v64, v64, v67 :: v_dual_mul_f32 v73, 0x3f3d2fb0, v48
	s_delay_alu instid0(VALU_DEP_2) | instskip(SKIP_1) | instid1(VALU_DEP_3)
	v_dual_mul_f32 v48, 0x3f6eb680, v48 :: v_dual_add_f32 v63, v71, v63
	v_fmamk_f32 v71, v49, 0x3f7ee86f, v70
	v_fmamk_f32 v67, v47, 0x3f2c7751, v73
	v_fmac_f32_e32 v73, 0xbf2c7751, v47
	v_fmac_f32_e32 v70, 0xbf7ee86f, v49
	s_delay_alu instid0(VALU_DEP_2) | instskip(SKIP_1) | instid1(VALU_DEP_2)
	v_add_f32_e32 v69, v9, v73
	v_add_f32_e32 v73, v9, v45
	;; [unrolled: 1-line block ×3, first 2 shown]
	s_delay_alu instid0(VALU_DEP_2) | instskip(NEXT) | instid1(VALU_DEP_1)
	v_add_f32_e32 v70, v73, v43
	v_dual_add_f32 v67, v9, v67 :: v_dual_add_f32 v70, v70, v41
	s_delay_alu instid0(VALU_DEP_1) | instskip(NEXT) | instid1(VALU_DEP_2)
	v_dual_add_f32 v70, v70, v39 :: v_dual_mul_f32 v75, 0xbf1a4643, v52
	v_dual_add_f32 v67, v67, v71 :: v_dual_mul_f32 v52, 0x3ee437d1, v52
	s_delay_alu instid0(VALU_DEP_2) | instskip(SKIP_1) | instid1(VALU_DEP_2)
	v_dual_add_f32 v70, v70, v37 :: v_dual_fmamk_f32 v71, v51, 0x3f4c4adb, v75
	v_fmac_f32_e32 v75, 0xbf4c4adb, v51
	v_add_f32_e32 v70, v70, v35
	s_delay_alu instid0(VALU_DEP_3) | instskip(NEXT) | instid1(VALU_DEP_2)
	v_add_f32_e32 v67, v67, v71
	v_dual_add_f32 v69, v69, v75 :: v_dual_add_f32 v70, v70, v33
	v_fmamk_f32 v71, v53, 0x3e3c28d5, v76
	v_fmac_f32_e32 v76, 0xbe3c28d5, v53
	s_delay_alu instid0(VALU_DEP_3) | instskip(NEXT) | instid1(VALU_DEP_3)
	v_add_f32_e32 v70, v70, v31
	v_add_f32_e32 v67, v67, v71
	v_fmamk_f32 v71, v55, 0xbf06c442, v72
	v_mul_f32_e32 v77, 0xbe8c1d8e, v58
	v_dual_add_f32 v69, v69, v76 :: v_dual_fmac_f32 v72, 0x3f06c442, v55
	s_delay_alu instid0(VALU_DEP_3) | instskip(NEXT) | instid1(VALU_DEP_3)
	v_add_f32_e32 v67, v67, v71
	v_fmamk_f32 v71, v57, 0xbf763a35, v77
	v_fmac_f32_e32 v77, 0x3f763a35, v57
	s_delay_alu instid0(VALU_DEP_4) | instskip(NEXT) | instid1(VALU_DEP_1)
	v_dual_add_f32 v69, v69, v72 :: v_dual_fmamk_f32 v72, v47, 0x3eb8f4ab, v48
	v_dual_fmac_f32 v48, 0xbeb8f4ab, v47 :: v_dual_add_f32 v47, v77, v69
	v_fmamk_f32 v69, v49, 0x3f2c7751, v50
	s_delay_alu instid0(VALU_DEP_2) | instskip(SKIP_3) | instid1(VALU_DEP_3)
	v_add_f32_e32 v48, v9, v48
	v_fmac_f32_e32 v50, 0xbf2c7751, v49
	v_fmamk_f32 v49, v51, 0x3f65296c, v52
	v_dual_fmac_f32 v52, 0xbf65296c, v51 :: v_dual_add_f32 v9, v9, v72
	v_dual_fmamk_f32 v51, v53, 0x3f7ee86f, v54 :: v_dual_add_f32 v48, v48, v50
	v_add_f32_e32 v50, v70, v25
	v_fmac_f32_e32 v54, 0xbf7ee86f, v53
	s_delay_alu instid0(VALU_DEP_4) | instskip(SKIP_4) | instid1(VALU_DEP_3)
	v_add_f32_e32 v9, v9, v69
	v_mul_f32_e32 v53, 0xbf59a7d5, v60
	v_add_f32_e32 v48, v48, v52
	v_dual_add_f32 v50, v50, v29 :: v_dual_add_f32 v67, v71, v67
	v_mul_f32_e32 v73, 0x3ee437d1, v60
	v_dual_add_f32 v9, v9, v49 :: v_dual_add_f32 v48, v48, v54
	v_mul_f32_e32 v54, 0xbf7ba420, v62
	s_delay_alu instid0(VALU_DEP_3) | instskip(SKIP_3) | instid1(VALU_DEP_4)
	v_dual_add_f32 v50, v21, v50 :: v_dual_fmamk_f32 v71, v59, 0xbf65296c, v73
	v_fmamk_f32 v49, v55, 0x3f763a35, v56
	v_fmac_f32_e32 v56, 0xbf763a35, v55
	v_mul_f32_e32 v75, 0x3f6eb680, v62
	v_add_f32_e32 v50, v27, v50
	v_dual_add_f32 v67, v67, v71 :: v_dual_mul_f32 v52, 0xbf1a4643, v58
	s_delay_alu instid0(VALU_DEP_3) | instskip(NEXT) | instid1(VALU_DEP_3)
	v_dual_add_f32 v48, v48, v56 :: v_dual_fmamk_f32 v71, v61, 0xbeb8f4ab, v75
	v_dual_add_f32 v50, v23, v50 :: v_dual_fmac_f32 v73, 0x3f65296c, v59
	s_delay_alu instid0(VALU_DEP_1) | instskip(SKIP_3) | instid1(VALU_DEP_4)
	v_dual_fmac_f32 v75, 0x3eb8f4ab, v61 :: v_dual_add_f32 v50, v19, v50
	v_add_f32_e32 v9, v9, v51
	v_fmamk_f32 v51, v57, 0x3f4c4adb, v52
	v_fmac_f32_e32 v52, 0xbf4c4adb, v57
	v_dual_add_f32 v47, v47, v73 :: v_dual_add_f32 v50, v17, v50
	s_delay_alu instid0(VALU_DEP_4) | instskip(NEXT) | instid1(VALU_DEP_3)
	v_add_f32_e32 v9, v9, v49
	v_dual_fmamk_f32 v49, v59, 0x3f06c442, v53 :: v_dual_add_f32 v48, v52, v48
	v_dual_add_f32 v52, v74, v64 :: v_dual_fmac_f32 v53, 0xbf06c442, v59
	s_delay_alu instid0(VALU_DEP_3) | instskip(SKIP_2) | instid1(VALU_DEP_4)
	v_add_f32_e32 v9, v51, v9
	v_fmamk_f32 v51, v61, 0x3e3c28d5, v54
	v_dual_fmac_f32 v54, 0xbe3c28d5, v61 :: v_dual_add_f32 v47, v75, v47
	v_add_f32_e32 v48, v48, v53
	s_delay_alu instid0(VALU_DEP_4) | instskip(SKIP_2) | instid1(VALU_DEP_4)
	v_add_f32_e32 v9, v9, v49
	v_add_f32_e32 v49, v15, v50
	v_mad_u32_u24 v50, 0x44, v6, 0
	v_dual_add_f32 v53, v71, v67 :: v_dual_add_f32 v48, v54, v48
	s_delay_alu instid0(VALU_DEP_4)
	v_add_f32_e32 v9, v51, v9
	ds_store_2addr_b32 v50, v49, v48 offset1:1
	ds_store_2addr_b32 v50, v47, v68 offset0:2 offset1:3
	ds_store_2addr_b32 v50, v63, v66 offset0:4 offset1:5
	;; [unrolled: 1-line block ×7, first 2 shown]
	ds_store_b32 v50, v9 offset:64
.LBB0_15:
	s_wait_alu 0xfffe
	s_or_b32 exec_lo, exec_lo, s0
	v_lshl_add_u32 v59, v6, 2, 0
	global_wb scope:SCOPE_SE
	s_wait_dscnt 0x0
	s_barrier_signal -1
	s_barrier_wait -1
	global_inv scope:SCOPE_SE
	v_add_nc_u32_e32 v9, 0x500, v59
	v_add_nc_u32_e32 v49, 0xb00, v59
	v_cmp_gt_u32_e64 s0, 0x44, v6
	ds_load_2addr_b32 v[47:48], v59 offset1:187
	ds_load_2addr_b32 v[51:52], v9 offset0:54 offset1:241
	ds_load_2addr_b32 v[49:50], v49 offset0:44 offset1:231
	ds_load_b32 v60, v59 offset:4488
	s_and_saveexec_b32 s4, s0
	s_cbranch_execz .LBB0_17
; %bb.16:
	v_add_nc_u32_e32 v0, 0x100, v59
	v_add_nc_u32_e32 v9, 0x700, v59
	;; [unrolled: 1-line block ×3, first 2 shown]
	ds_load_2addr_b32 v[7:8], v0 offset0:55 offset1:242
	ds_load_2addr_b32 v[13:14], v9 offset0:45 offset1:232
	;; [unrolled: 1-line block ×3, first 2 shown]
	ds_load_b32 v0, v59 offset:4964
.LBB0_17:
	s_wait_alu 0xfffe
	s_or_b32 exec_lo, exec_lo, s4
	v_dual_sub_f32 v83, v45, v15 :: v_dual_sub_f32 v84, v43, v17
	v_add_f32_e32 v9, v46, v16
	v_add_f32_e32 v81, v44, v18
	;; [unrolled: 1-line block ×3, first 2 shown]
	s_delay_alu instid0(VALU_DEP_4) | instskip(SKIP_2) | instid1(VALU_DEP_3)
	v_dual_mul_f32 v15, 0xbf06c442, v83 :: v_dual_add_f32 v68, v38, v28
	v_mul_f32_e32 v78, 0xbf7ee86f, v83
	v_dual_mul_f32 v17, 0xbe3c28d5, v83 :: v_dual_mul_f32 v82, 0xbe3c28d5, v84
	v_fma_f32 v54, 0xbf59a7d5, v9, -v15
	v_mul_f32_e32 v79, 0xbf763a35, v83
	v_dual_mul_f32 v69, 0x3f06c442, v84 :: v_dual_sub_f32 v76, v37, v27
	s_delay_alu instid0(VALU_DEP_4) | instskip(NEXT) | instid1(VALU_DEP_3)
	v_fma_f32 v55, 0xbf7ba420, v9, -v17
	v_dual_add_f32 v54, v10, v54 :: v_dual_fmamk_f32 v45, v9, 0xbe8c1d8e, v79
	v_mul_f32_e32 v80, 0xbf4c4adb, v83
	v_mul_f32_e32 v58, 0x3f65296c, v84
	v_fmamk_f32 v57, v81, 0xbf59a7d5, v69
	v_sub_f32_e32 v77, v41, v19
	v_add_f32_e32 v45, v10, v45
	v_fmamk_f32 v43, v9, 0x3dbcf732, v78
	v_dual_add_f32 v55, v10, v55 :: v_dual_mul_f32 v62, 0x3eb8f4ab, v84
	s_delay_alu instid0(VALU_DEP_4)
	v_dual_add_f32 v71, v42, v20 :: v_dual_mul_f32 v66, 0x3f2c7751, v77
	v_mul_f32_e32 v61, 0xbeb8f4ab, v77
	v_add_f32_e32 v57, v45, v57
	v_fma_f32 v45, 0x3ee437d1, v81, -v58
	v_dual_fmamk_f32 v53, v9, 0xbf1a4643, v80 :: v_dual_sub_f32 v72, v35, v21
	v_dual_add_f32 v43, v10, v43 :: v_dual_fmamk_f32 v56, v81, 0xbf7ba420, v82
	v_fmac_f32_e32 v17, 0xbf7ba420, v9
	s_delay_alu instid0(VALU_DEP_4)
	v_add_f32_e32 v19, v54, v45
	v_fma_f32 v41, 0x3f6eb680, v81, -v62
	v_mul_f32_e32 v45, 0x3f763a35, v77
	v_dual_add_f32 v53, v10, v53 :: v_dual_mul_f32 v70, 0x3f763a35, v84
	v_add_f32_e32 v17, v10, v17
	v_dual_add_f32 v43, v43, v56 :: v_dual_fmac_f32 v58, 0x3ee437d1, v81
	s_delay_alu instid0(VALU_DEP_4)
	v_fmamk_f32 v54, v71, 0xbe8c1d8e, v45
	v_sub_f32_e32 v75, v39, v23
	v_add_f32_e32 v41, v55, v41
	v_fmamk_f32 v55, v71, 0x3f3d2fb0, v66
	v_fmac_f32_e32 v15, 0xbf59a7d5, v9
	v_dual_fmamk_f32 v56, v81, 0xbe8c1d8e, v70 :: v_dual_add_f32 v43, v43, v54
	v_fmac_f32_e32 v62, 0x3f6eb680, v81
	s_delay_alu instid0(VALU_DEP_4) | instskip(NEXT) | instid1(VALU_DEP_4)
	v_add_f32_e32 v54, v57, v55
	v_add_f32_e32 v15, v10, v15
	s_delay_alu instid0(VALU_DEP_4) | instskip(NEXT) | instid1(VALU_DEP_4)
	v_dual_add_f32 v53, v53, v56 :: v_dual_mul_f32 v56, 0xbf7ee86f, v77
	v_add_f32_e32 v17, v17, v62
	v_mul_f32_e32 v57, 0xbf06c442, v77
	s_delay_alu instid0(VALU_DEP_4) | instskip(NEXT) | instid1(VALU_DEP_4)
	v_dual_add_f32 v15, v15, v58 :: v_dual_mul_f32 v62, 0xbf65296c, v75
	v_fma_f32 v55, 0x3dbcf732, v71, -v56
	v_fmac_f32_e32 v56, 0x3dbcf732, v71
	s_delay_alu instid0(VALU_DEP_4) | instskip(SKIP_1) | instid1(VALU_DEP_4)
	v_fma_f32 v39, 0xbf59a7d5, v71, -v57
	v_mul_f32_e32 v23, 0x3eb8f4ab, v75
	v_dual_mul_f32 v74, 0x3f65296c, v72 :: v_dual_add_f32 v19, v19, v55
	s_delay_alu instid0(VALU_DEP_4)
	v_add_f32_e32 v15, v15, v56
	v_fmamk_f32 v55, v67, 0x3ee437d1, v62
	v_mul_f32_e32 v56, 0x3f4c4adb, v75
	v_fmamk_f32 v58, v71, 0x3f6eb680, v61
	v_mul_f32_e32 v27, 0xbf65296c, v76
	v_mul_f32_e32 v35, 0x3f7ee86f, v72
	v_add_f32_e32 v39, v41, v39
	v_dual_fmamk_f32 v41, v67, 0x3f6eb680, v23 :: v_dual_add_f32 v54, v54, v55
	v_fma_f32 v55, 0xbf1a4643, v67, -v56
	v_sub_f32_e32 v73, v33, v29
	v_dual_add_f32 v53, v53, v58 :: v_dual_fmac_f32 v56, 0xbf1a4643, v67
	s_delay_alu instid0(VALU_DEP_3) | instskip(NEXT) | instid1(VALU_DEP_3)
	v_dual_mul_f32 v58, 0xbeb8f4ab, v76 :: v_dual_add_f32 v19, v19, v55
	v_mul_f32_e32 v86, 0xbf763a35, v73
	v_fmamk_f32 v55, v68, 0x3ee437d1, v27
	v_mul_f32_e32 v65, 0xbe3c28d5, v73
	v_add_f32_e32 v43, v43, v41
	v_fmac_f32_e32 v57, 0xbf59a7d5, v71
	v_mul_f32_e32 v29, 0x3f4c4adb, v73
	v_mul_f32_e32 v85, 0x3f2c7751, v73
	global_wb scope:SCOPE_SE
	s_wait_dscnt 0x0
	v_add_f32_e32 v55, v43, v55
	v_fma_f32 v43, 0x3f6eb680, v68, -v58
	v_fmac_f32_e32 v58, 0x3f6eb680, v68
	v_mul_f32_e32 v63, 0xbf06c442, v75
	s_barrier_signal -1
	s_barrier_wait -1
	v_add_f32_e32 v19, v19, v43
	v_add_f32_e32 v43, v36, v22
	v_fmamk_f32 v41, v67, 0xbf59a7d5, v63
	v_add_f32_e32 v17, v17, v57
	v_mul_f32_e32 v57, 0x3f2c7751, v75
	global_inv scope:SCOPE_SE
	v_fma_f32 v33, 0x3ee437d1, v43, -v74
	v_add_f32_e32 v53, v53, v41
	v_mul_f32_e32 v41, 0xbe3c28d5, v76
	v_fma_f32 v37, 0x3f3d2fb0, v67, -v57
	v_dual_fmac_f32 v74, 0x3ee437d1, v43 :: v_dual_add_f32 v15, v15, v56
	v_fmac_f32_e32 v57, 0x3f3d2fb0, v67
	s_delay_alu instid0(VALU_DEP_4) | instskip(SKIP_3) | instid1(VALU_DEP_4)
	v_fmamk_f32 v56, v68, 0xbf7ba420, v41
	v_fmamk_f32 v64, v43, 0x3dbcf732, v35
	v_add_f32_e32 v39, v39, v37
	v_mul_f32_e32 v37, 0x3f7ee86f, v76
	v_dual_add_f32 v57, v17, v57 :: v_dual_add_f32 v54, v54, v56
	v_dual_mul_f32 v56, 0xbf4c4adb, v76 :: v_dual_add_f32 v15, v15, v58
	s_delay_alu instid0(VALU_DEP_3) | instskip(NEXT) | instid1(VALU_DEP_3)
	v_fmamk_f32 v17, v68, 0x3dbcf732, v37
	v_add_f32_e32 v54, v64, v54
	s_delay_alu instid0(VALU_DEP_3) | instskip(NEXT) | instid1(VALU_DEP_3)
	v_fma_f32 v21, 0xbf1a4643, v68, -v56
	v_dual_fmac_f32 v56, 0xbf1a4643, v68 :: v_dual_add_f32 v53, v53, v17
	v_mul_f32_e32 v17, 0xbf06c442, v72
	s_delay_alu instid0(VALU_DEP_2) | instskip(SKIP_1) | instid1(VALU_DEP_3)
	v_dual_add_f32 v21, v39, v21 :: v_dual_add_f32 v56, v57, v56
	v_mul_f32_e32 v57, 0xbe3c28d5, v72
	v_fmamk_f32 v58, v43, 0xbf59a7d5, v17
	v_mul_f32_e32 v39, 0xbf2c7751, v72
	s_delay_alu instid0(VALU_DEP_4) | instskip(NEXT) | instid1(VALU_DEP_4)
	v_add_f32_e32 v56, v74, v56
	v_fma_f32 v64, 0xbf7ba420, v43, -v57
	s_delay_alu instid0(VALU_DEP_3) | instskip(SKIP_1) | instid1(VALU_DEP_3)
	v_dual_add_f32 v55, v58, v55 :: v_dual_fmamk_f32 v58, v43, 0x3f3d2fb0, v39
	v_fmac_f32_e32 v57, 0xbf7ba420, v43
	v_dual_add_f32 v19, v64, v19 :: v_dual_add_f32 v64, v34, v30
	s_delay_alu instid0(VALU_DEP_3) | instskip(NEXT) | instid1(VALU_DEP_3)
	v_add_f32_e32 v53, v58, v53
	v_add_f32_e32 v57, v57, v15
	;; [unrolled: 1-line block ×3, first 2 shown]
	v_mul_f32_e32 v33, 0xbeb8f4ab, v73
	v_fmamk_f32 v15, v64, 0xbf1a4643, v29
	v_fmamk_f32 v74, v64, 0xbf7ba420, v65
	s_delay_alu instid0(VALU_DEP_3) | instskip(NEXT) | instid1(VALU_DEP_3)
	v_fmamk_f32 v21, v64, 0x3f6eb680, v33
	v_add_f32_e32 v55, v55, v15
	v_fma_f32 v15, 0x3f3d2fb0, v64, -v85
	s_delay_alu instid0(VALU_DEP_4) | instskip(NEXT) | instid1(VALU_DEP_4)
	v_dual_add_f32 v53, v53, v74 :: v_dual_sub_f32 v74, v31, v25
	v_dual_fmac_f32 v85, 0x3f3d2fb0, v64 :: v_dual_add_f32 v54, v54, v21
	s_delay_alu instid0(VALU_DEP_3)
	v_add_f32_e32 v87, v19, v15
	v_fma_f32 v19, 0xbe8c1d8e, v64, -v86
	v_dual_add_f32 v15, v32, v26 :: v_dual_fmac_f32 v86, 0xbe8c1d8e, v64
	v_mul_f32_e32 v25, 0xbf4c4adb, v74
	v_mul_f32_e32 v21, 0x3f2c7751, v74
	v_add_f32_e32 v57, v57, v85
	s_delay_alu instid0(VALU_DEP_4) | instskip(NEXT) | instid1(VALU_DEP_4)
	v_dual_add_f32 v85, v58, v19 :: v_dual_add_f32 v86, v56, v86
	v_fmamk_f32 v56, v15, 0xbf1a4643, v25
	v_mul_f32_e32 v31, 0x3f65296c, v74
	v_mul_f32_e32 v58, 0xbf763a35, v74
	;; [unrolled: 1-line block ×3, first 2 shown]
	s_delay_alu instid0(VALU_DEP_4) | instskip(NEXT) | instid1(VALU_DEP_4)
	v_dual_fmamk_f32 v19, v15, 0x3f3d2fb0, v21 :: v_dual_add_f32 v56, v56, v54
	v_fmamk_f32 v54, v15, 0x3ee437d1, v31
	s_delay_alu instid0(VALU_DEP_4)
	v_fma_f32 v89, 0xbe8c1d8e, v15, -v58
	v_fmac_f32_e32 v58, 0xbe8c1d8e, v15
	v_fma_f32 v90, 0x3dbcf732, v15, -v88
	v_fmac_f32_e32 v88, 0x3dbcf732, v15
	v_add_f32_e32 v19, v19, v55
	v_add_f32_e32 v55, v54, v53
	v_dual_add_f32 v53, v89, v87 :: v_dual_add_f32 v58, v58, v57
	s_delay_alu instid0(VALU_DEP_4)
	v_dual_add_f32 v54, v90, v85 :: v_dual_add_f32 v57, v88, v86
	s_and_saveexec_b32 s4, s1
	s_cbranch_execz .LBB0_19
; %bb.18:
	v_dual_add_f32 v46, v10, v46 :: v_dual_mul_f32 v85, 0x3dbcf732, v9
	v_mul_f32_e32 v87, 0xbf1a4643, v9
	v_dual_mul_f32 v102, 0xbf2c7751, v83 :: v_dual_mul_f32 v103, 0xbf2c7751, v84
	s_delay_alu instid0(VALU_DEP_3) | instskip(SKIP_2) | instid1(VALU_DEP_3)
	v_dual_add_f32 v44, v46, v44 :: v_dual_mul_f32 v91, 0x3f3d2fb0, v71
	v_dual_mul_f32 v88, 0xbf7ba420, v81 :: v_dual_mul_f32 v95, 0xbf7ba420, v68
	v_dual_mul_f32 v46, 0xbf59a7d5, v81 :: v_dual_mul_f32 v97, 0xbf59a7d5, v43
	v_dual_add_f32 v42, v44, v42 :: v_dual_mul_f32 v93, 0x3ee437d1, v67
	v_dual_mul_f32 v89, 0xbe8c1d8e, v81 :: v_dual_mul_f32 v90, 0xbe8c1d8e, v71
	v_mul_f32_e32 v104, 0xbf7ee86f, v84
	s_delay_alu instid0(VALU_DEP_3) | instskip(SKIP_2) | instid1(VALU_DEP_3)
	v_add_f32_e32 v40, v42, v40
	v_mul_f32_e32 v98, 0x3f3d2fb0, v43
	v_dual_mul_f32 v42, 0x3ee437d1, v68 :: v_dual_mul_f32 v105, 0x3ee437d1, v15
	v_dual_mul_f32 v99, 0xbf1a4643, v64 :: v_dual_add_f32 v38, v40, v38
	s_delay_alu instid0(VALU_DEP_1) | instskip(SKIP_2) | instid1(VALU_DEP_3)
	v_dual_sub_f32 v17, v97, v17 :: v_dual_add_f32 v36, v38, v36
	v_mul_f32_e32 v38, 0xbeb8f4ab, v83
	v_mul_f32_e32 v83, 0xbf65296c, v83
	v_dual_mul_f32 v101, 0xbf7ba420, v64 :: v_dual_add_f32 v34, v36, v34
	s_delay_alu instid0(VALU_DEP_3) | instskip(NEXT) | instid1(VALU_DEP_3)
	v_fma_f32 v106, 0x3f6eb680, v9, -v38
	v_fma_f32 v107, 0x3ee437d1, v9, -v83
	v_fmac_f32_e32 v83, 0x3ee437d1, v9
	v_fmac_f32_e32 v38, 0x3f6eb680, v9
	v_add_f32_e32 v32, v34, v32
	v_mul_f32_e32 v94, 0xbf59a7d5, v67
	s_delay_alu instid0(VALU_DEP_4) | instskip(SKIP_1) | instid1(VALU_DEP_4)
	v_dual_mul_f32 v100, 0x3f6eb680, v64 :: v_dual_add_f32 v83, v10, v83
	v_mul_f32_e32 v34, 0xbf1a4643, v15
	v_add_f32_e32 v26, v32, v26
	v_mul_f32_e32 v86, 0xbe8c1d8e, v9
	v_fma_f32 v32, 0x3f3d2fb0, v9, -v102
	s_delay_alu instid0(VALU_DEP_3) | instskip(SKIP_3) | instid1(VALU_DEP_4)
	v_dual_fmac_f32 v102, 0x3f3d2fb0, v9 :: v_dual_add_f32 v9, v26, v30
	v_mul_f32_e32 v44, 0x3f6eb680, v71
	v_sub_f32_e32 v26, v85, v78
	v_sub_f32_e32 v30, v86, v79
	v_dual_sub_f32 v78, v87, v80 :: v_dual_add_f32 v9, v22, v9
	v_mul_f32_e32 v92, 0x3f6eb680, v67
	v_fma_f32 v79, 0x3f3d2fb0, v81, -v103
	v_fmac_f32_e32 v103, 0x3f3d2fb0, v81
	v_sub_f32_e32 v44, v44, v61
	v_dual_add_f32 v9, v28, v9 :: v_dual_mul_f32 v96, 0x3dbcf732, v68
	v_dual_mul_f32 v84, 0xbf4c4adb, v84 :: v_dual_sub_f32 v23, v92, v23
	v_sub_f32_e32 v28, v88, v82
	s_delay_alu instid0(VALU_DEP_3) | instskip(NEXT) | instid1(VALU_DEP_3)
	v_dual_add_f32 v9, v24, v9 :: v_dual_mul_f32 v40, 0x3dbcf732, v43
	v_fma_f32 v80, 0xbf1a4643, v81, -v84
	v_fmac_f32_e32 v84, 0xbf1a4643, v81
	v_dual_add_f32 v38, v10, v38 :: v_dual_sub_f32 v37, v96, v37
	s_delay_alu instid0(VALU_DEP_4) | instskip(SKIP_3) | instid1(VALU_DEP_4)
	v_dual_add_f32 v9, v20, v9 :: v_dual_add_f32 v24, v10, v32
	v_add_f32_e32 v32, v10, v102
	v_add_f32_e32 v82, v10, v107
	;; [unrolled: 1-line block ×3, first 2 shown]
	v_dual_add_f32 v9, v18, v9 :: v_dual_mul_f32 v36, 0x3f3d2fb0, v15
	v_add_f32_e32 v26, v10, v30
	v_add_f32_e32 v18, v38, v103
	s_delay_alu instid0(VALU_DEP_4) | instskip(NEXT) | instid1(VALU_DEP_4)
	v_add_f32_e32 v20, v20, v28
	v_add_f32_e32 v9, v16, v9
	v_sub_f32_e32 v16, v46, v69
	v_dual_mul_f32 v46, 0xbf65296c, v77 :: v_dual_sub_f32 v69, v89, v70
	v_fma_f32 v22, 0x3dbcf732, v81, -v104
	v_dual_fmac_f32 v104, 0x3dbcf732, v81 :: v_dual_add_f32 v81, v10, v106
	v_add_f32_e32 v10, v10, v78
	v_dual_add_f32 v16, v26, v16 :: v_dual_sub_f32 v21, v36, v21
	v_mul_f32_e32 v26, 0xbf4c4adb, v77
	s_delay_alu instid0(VALU_DEP_4)
	v_add_f32_e32 v30, v81, v79
	v_fma_f32 v28, 0x3ee437d1, v71, -v46
	v_add_f32_e32 v10, v10, v69
	v_dual_mul_f32 v69, 0x3e3c28d5, v77 :: v_dual_add_f32 v22, v24, v22
	v_add_f32_e32 v24, v32, v104
	v_add_f32_e32 v32, v82, v80
	v_fma_f32 v70, 0xbf1a4643, v71, -v26
	v_add_f32_e32 v28, v30, v28
	v_fmac_f32_e32 v26, 0xbf1a4643, v71
	v_fma_f32 v30, 0xbf7ba420, v71, -v69
	v_add_f32_e32 v38, v83, v84
	v_fmac_f32_e32 v46, 0x3ee437d1, v71
	s_delay_alu instid0(VALU_DEP_4) | instskip(NEXT) | instid1(VALU_DEP_4)
	v_dual_fmac_f32 v69, 0xbf7ba420, v71 :: v_dual_add_f32 v24, v24, v26
	v_add_f32_e32 v26, v32, v30
	v_sub_f32_e32 v30, v90, v45
	v_dual_sub_f32 v32, v91, v66 :: v_dual_mul_f32 v45, 0xbf7ee86f, v75
	v_add_f32_e32 v10, v10, v44
	v_mul_f32_e32 v44, 0x3f763a35, v75
	s_delay_alu instid0(VALU_DEP_4) | instskip(NEXT) | instid1(VALU_DEP_4)
	v_add_f32_e32 v20, v20, v30
	v_add_f32_e32 v16, v16, v32
	v_mul_f32_e32 v30, 0xbe3c28d5, v75
	v_fma_f32 v32, 0x3dbcf732, v67, -v45
	v_add_f32_e32 v18, v18, v46
	v_dual_add_f32 v38, v38, v69 :: v_dual_fmac_f32 v45, 0x3dbcf732, v67
	s_delay_alu instid0(VALU_DEP_4) | instskip(NEXT) | instid1(VALU_DEP_4)
	v_fma_f32 v46, 0xbf7ba420, v67, -v30
	v_add_f32_e32 v28, v28, v32
	v_fmac_f32_e32 v30, 0xbf7ba420, v67
	v_fma_f32 v32, 0xbe8c1d8e, v67, -v44
	v_fmac_f32_e32 v44, 0xbe8c1d8e, v67
	v_dual_add_f32 v20, v20, v23 :: v_dual_mul_f32 v23, 0x3f06c442, v76
	s_delay_alu instid0(VALU_DEP_4) | instskip(NEXT) | instid1(VALU_DEP_4)
	v_add_f32_e32 v24, v24, v30
	v_add_f32_e32 v26, v26, v32
	v_sub_f32_e32 v30, v93, v62
	v_add_f32_e32 v32, v38, v44
	v_mul_f32_e32 v38, 0xbf763a35, v76
	v_sub_f32_e32 v44, v94, v63
	v_add_f32_e32 v18, v18, v45
	v_add_f32_e32 v16, v16, v30
	v_fma_f32 v45, 0xbf59a7d5, v68, -v23
	v_fma_f32 v30, 0xbe8c1d8e, v68, -v38
	v_add_f32_e32 v10, v10, v44
	v_mul_f32_e32 v44, 0x3f2c7751, v76
	v_fmac_f32_e32 v23, 0xbf59a7d5, v68
	v_fmac_f32_e32 v38, 0xbe8c1d8e, v68
	v_add_f32_e32 v28, v28, v30
	v_add_f32_e32 v10, v10, v37
	v_fma_f32 v30, 0x3f3d2fb0, v68, -v44
	v_dual_fmac_f32 v44, 0x3f3d2fb0, v68 :: v_dual_add_f32 v23, v24, v23
	v_dual_add_f32 v18, v18, v38 :: v_dual_mul_f32 v37, 0xbeb8f4ab, v72
	s_delay_alu instid0(VALU_DEP_3) | instskip(SKIP_1) | instid1(VALU_DEP_4)
	v_add_f32_e32 v24, v26, v30
	v_dual_sub_f32 v26, v42, v27 :: v_dual_sub_f32 v27, v95, v41
	v_add_f32_e32 v30, v32, v44
	v_mul_f32_e32 v32, 0xbf4c4adb, v72
	s_delay_alu instid0(VALU_DEP_3) | instskip(SKIP_2) | instid1(VALU_DEP_4)
	v_add_f32_e32 v20, v20, v26
	v_mul_f32_e32 v26, 0x3f763a35, v72
	v_add_f32_e32 v16, v16, v27
	v_fma_f32 v27, 0xbf1a4643, v43, -v32
	s_delay_alu instid0(VALU_DEP_4) | instskip(NEXT) | instid1(VALU_DEP_4)
	v_dual_fmac_f32 v32, 0xbf1a4643, v43 :: v_dual_add_f32 v17, v17, v20
	v_fma_f32 v38, 0xbe8c1d8e, v43, -v26
	v_fmac_f32_e32 v26, 0xbe8c1d8e, v43
	s_delay_alu instid0(VALU_DEP_4) | instskip(SKIP_2) | instid1(VALU_DEP_4)
	v_dual_mul_f32 v20, 0x3f65296c, v73 :: v_dual_add_f32 v27, v27, v28
	v_fma_f32 v28, 0x3f6eb680, v43, -v37
	v_fmac_f32_e32 v37, 0x3f6eb680, v43
	v_add_f32_e32 v23, v26, v23
	v_sub_f32_e32 v26, v40, v35
	v_fma_f32 v35, 0x3ee437d1, v64, -v20
	v_fmac_f32_e32 v20, 0x3ee437d1, v64
	v_add_f32_e32 v18, v32, v18
	v_add_f32_e32 v24, v28, v24
	;; [unrolled: 1-line block ×3, first 2 shown]
	v_mul_f32_e32 v30, 0xbf06c442, v73
	v_sub_f32_e32 v32, v98, v39
	v_add_f32_e32 v20, v23, v20
	v_dual_sub_f32 v23, v99, v29 :: v_dual_add_f32 v16, v26, v16
	s_delay_alu instid0(VALU_DEP_4) | instskip(NEXT) | instid1(VALU_DEP_4)
	v_fma_f32 v26, 0xbf59a7d5, v64, -v30
	v_add_f32_e32 v10, v32, v10
	s_delay_alu instid0(VALU_DEP_3) | instskip(SKIP_1) | instid1(VALU_DEP_4)
	v_dual_mul_f32 v32, 0xbf7ee86f, v73 :: v_dual_add_f32 v17, v17, v23
	v_add_f32_e32 v22, v22, v70
	v_dual_add_f32 v26, v27, v26 :: v_dual_sub_f32 v29, v101, v65
	s_delay_alu instid0(VALU_DEP_3) | instskip(NEXT) | instid1(VALU_DEP_3)
	v_fma_f32 v27, 0x3dbcf732, v64, -v32
	v_dual_add_f32 v17, v21, v17 :: v_dual_add_f32 v22, v22, v46
	v_fmac_f32_e32 v30, 0xbf59a7d5, v64
	s_delay_alu instid0(VALU_DEP_3) | instskip(SKIP_1) | instid1(VALU_DEP_4)
	v_dual_mul_f32 v23, 0xbe3c28d5, v74 :: v_dual_add_f32 v24, v24, v27
	v_sub_f32_e32 v27, v100, v33
	v_add_f32_e32 v22, v22, v45
	v_dual_add_f32 v10, v10, v29 :: v_dual_mul_f32 v29, 0xbf06c442, v74
	v_fmac_f32_e32 v32, 0x3dbcf732, v64
	s_delay_alu instid0(VALU_DEP_4) | instskip(NEXT) | instid1(VALU_DEP_4)
	v_add_f32_e32 v16, v16, v27
	v_add_f32_e32 v22, v38, v22
	v_mul_f32_e32 v27, 0x3eb8f4ab, v74
	v_add_f32_e32 v18, v18, v30
	v_fma_f32 v30, 0xbf7ba420, v15, -v23
	v_fmac_f32_e32 v23, 0xbf7ba420, v15
	v_fma_f32 v33, 0xbf59a7d5, v15, -v29
	v_add_f32_e32 v22, v22, v35
	v_add_f32_e32 v28, v28, v32
	v_fma_f32 v32, 0x3f6eb680, v15, -v27
	s_delay_alu instid0(VALU_DEP_4)
	v_dual_add_f32 v18, v23, v18 :: v_dual_add_f32 v23, v33, v24
	v_dual_sub_f32 v24, v34, v25 :: v_dual_sub_f32 v25, v105, v31
	v_dual_fmac_f32 v27, 0x3f6eb680, v15 :: v_dual_add_f32 v26, v30, v26
	v_fmac_f32_e32 v29, 0xbf59a7d5, v15
	v_lshl_add_u32 v15, v6, 6, v59
	v_add_f32_e32 v22, v32, v22
	v_add_f32_e32 v16, v24, v16
	;; [unrolled: 1-line block ×5, first 2 shown]
	ds_store_2addr_b32 v15, v9, v26 offset1:1
	ds_store_2addr_b32 v15, v22, v23 offset0:2 offset1:3
	ds_store_2addr_b32 v15, v17, v16 offset0:4 offset1:5
	;; [unrolled: 1-line block ×7, first 2 shown]
	ds_store_b32 v15, v18 offset:64
.LBB0_19:
	s_wait_alu 0xfffe
	s_or_b32 exec_lo, exec_lo, s4
	v_add_nc_u32_e32 v15, 0x500, v59
	v_add_nc_u32_e32 v16, 0xb00, v59
	global_wb scope:SCOPE_SE
	s_wait_dscnt 0x0
	s_barrier_signal -1
	s_barrier_wait -1
	global_inv scope:SCOPE_SE
	ds_load_2addr_b32 v[9:10], v59 offset1:187
	ds_load_2addr_b32 v[17:18], v15 offset0:54 offset1:241
	ds_load_2addr_b32 v[15:16], v16 offset0:44 offset1:231
	ds_load_b32 v23, v59 offset:4488
	s_and_saveexec_b32 s1, s0
	s_cbranch_execz .LBB0_21
; %bb.20:
	v_add_nc_u32_e32 v19, 0x100, v59
	v_add_nc_u32_e32 v20, 0x700, v59
	;; [unrolled: 1-line block ×3, first 2 shown]
	ds_load_2addr_b32 v[53:54], v19 offset0:55 offset1:242
	ds_load_2addr_b32 v[57:58], v20 offset0:45 offset1:232
	;; [unrolled: 1-line block ×3, first 2 shown]
	ds_load_b32 v19, v59 offset:4964
.LBB0_21:
	s_wait_alu 0xfffe
	s_or_b32 exec_lo, exec_lo, s1
	v_and_b32_e32 v20, 0xff, v6
	v_add_nc_u16 v22, v6, 0x77
	s_delay_alu instid0(VALU_DEP_2) | instskip(NEXT) | instid1(VALU_DEP_2)
	v_mul_lo_u16 v20, 0xf1, v20
	v_and_b32_e32 v24, 0xff, v22
	s_delay_alu instid0(VALU_DEP_2) | instskip(NEXT) | instid1(VALU_DEP_2)
	v_lshrrev_b16 v20, 12, v20
	v_mul_lo_u16 v24, 0xf1, v24
	s_delay_alu instid0(VALU_DEP_2) | instskip(NEXT) | instid1(VALU_DEP_2)
	v_mul_lo_u16 v21, v20, 17
	v_lshrrev_b16 v32, 12, v24
	s_delay_alu instid0(VALU_DEP_2) | instskip(NEXT) | instid1(VALU_DEP_2)
	v_sub_nc_u16 v21, v6, v21
	v_mul_lo_u16 v34, v32, 17
	s_delay_alu instid0(VALU_DEP_2) | instskip(NEXT) | instid1(VALU_DEP_2)
	v_and_b32_e32 v21, 0xff, v21
	v_sub_nc_u16 v22, v22, v34
	s_delay_alu instid0(VALU_DEP_2) | instskip(NEXT) | instid1(VALU_DEP_1)
	v_mul_u32_u24_e32 v25, 6, v21
	v_lshlrev_b32_e32 v33, 3, v25
	s_clause 0x2
	global_load_b128 v[24:27], v33, s[8:9]
	global_load_b128 v[28:31], v33, s[8:9] offset:16
	global_load_b128 v[40:43], v33, s[8:9] offset:32
	v_and_b32_e32 v33, 0xff, v22
	v_and_b32_e32 v20, 0xffff, v20
	s_wait_loadcnt_dscnt 0x102
	v_mul_f32_e32 v34, v18, v29
	v_mul_f32_e32 v29, v52, v29
	v_mul_u32_u24_e32 v22, 6, v33
	v_mul_u32_u24_e32 v20, 0x1dc, v20
	s_wait_loadcnt_dscnt 0x1
	v_dual_mul_f32 v35, v15, v31 :: v_dual_mul_f32 v36, v16, v41
	v_dual_mul_f32 v41, v50, v41 :: v_dual_fmac_f32 v34, v52, v28
	v_lshlrev_b32_e32 v22, 3, v22
	s_clause 0x2
	global_load_b128 v[61:64], v22, s[8:9]
	global_load_b128 v[65:68], v22, s[8:9] offset:16
	global_load_b128 v[69:72], v22, s[8:9] offset:32
	v_lshlrev_b32_e32 v22, 2, v21
	v_dual_mul_f32 v32, v17, v27 :: v_dual_and_b32 v21, 0xffff, v32
	v_mul_f32_e32 v27, v51, v27
	v_mul_f32_e32 v31, v49, v31
	s_delay_alu instid0(VALU_DEP_4)
	v_add3_u32 v22, 0, v20, v22
	v_lshlrev_b32_e32 v20, 2, v33
	v_mul_f32_e32 v33, v10, v25
	v_mul_f32_e32 v25, v48, v25
	s_wait_dscnt 0x0
	v_dual_mul_f32 v37, v23, v43 :: v_dual_fmac_f32 v36, v50, v40
	v_mul_f32_e32 v43, v60, v43
	v_fmac_f32_e32 v33, v48, v24
	v_fma_f32 v38, v10, v24, -v25
	v_fmac_f32_e32 v32, v51, v26
	v_fma_f32 v39, v17, v26, -v27
	v_fma_f32 v10, v18, v28, -v29
	v_fmac_f32_e32 v35, v49, v30
	v_fma_f32 v15, v15, v30, -v31
	v_fma_f32 v16, v16, v40, -v41
	v_fmac_f32_e32 v37, v60, v42
	global_wb scope:SCOPE_SE
	s_wait_loadcnt 0x0
	s_barrier_signal -1
	s_barrier_wait -1
	global_inv scope:SCOPE_SE
	v_mul_f32_e32 v18, v54, v62
	v_fma_f32 v40, v23, v42, -v43
	v_dual_mul_f32 v26, v19, v72 :: v_dual_mul_f32 v23, v58, v66
	v_mul_f32_e32 v42, v0, v72
	v_mul_f32_e32 v30, v14, v66
	v_dual_mul_f32 v24, v55, v68 :: v_dual_mul_f32 v27, v8, v62
	v_mul_f32_e32 v31, v11, v68
	v_mul_f32_e32 v25, v56, v70
	v_dual_mul_f32 v17, v57, v64 :: v_dual_fmac_f32 v18, v8, v61
	s_delay_alu instid0(VALU_DEP_4)
	v_dual_mul_f32 v41, v12, v70 :: v_dual_fmac_f32 v24, v11, v67
	v_fma_f32 v28, v54, v61, -v27
	v_fma_f32 v27, v58, v65, -v30
	v_add_f32_e32 v8, v33, v37
	v_fma_f32 v30, v55, v67, -v31
	v_sub_f32_e32 v31, v15, v10
	v_dual_fmac_f32 v23, v14, v65 :: v_dual_sub_f32 v14, v39, v16
	v_dual_fmac_f32 v25, v12, v69 :: v_dual_sub_f32 v12, v38, v40
	v_mul_f32_e32 v29, v13, v64
	v_fma_f32 v19, v19, v71, -v42
	s_delay_alu instid0(VALU_DEP_4) | instskip(SKIP_3) | instid1(VALU_DEP_4)
	v_add_f32_e32 v45, v31, v14
	v_sub_f32_e32 v46, v31, v14
	v_sub_f32_e32 v14, v14, v12
	v_add_f32_e32 v11, v32, v36
	v_dual_sub_f32 v31, v12, v31 :: v_dual_add_f32 v12, v45, v12
	s_delay_alu instid0(VALU_DEP_4) | instskip(NEXT) | instid1(VALU_DEP_4)
	v_mul_f32_e32 v45, 0x3f08b237, v46
	v_dual_mul_f32 v46, 0xbf5ff5aa, v14 :: v_dual_fmac_f32 v17, v13, v63
	s_delay_alu instid0(VALU_DEP_4) | instskip(SKIP_1) | instid1(VALU_DEP_4)
	v_dual_sub_f32 v44, v11, v8 :: v_dual_add_f32 v13, v34, v35
	v_add_f32_e32 v43, v11, v8
	v_fma_f32 v14, 0xbf5ff5aa, v14, -v45
	v_fmac_f32_e32 v26, v0, v71
	s_delay_alu instid0(VALU_DEP_4) | instskip(SKIP_1) | instid1(VALU_DEP_4)
	v_sub_f32_e32 v8, v8, v13
	v_fma_f32 v29, v57, v63, -v29
	v_fmac_f32_e32 v14, 0xbee1c552, v12
	v_fmamk_f32 v48, v31, 0xbeae86e6, v45
	v_fma_f32 v45, 0x3eae86e6, v31, -v46
	v_dual_mul_f32 v8, 0x3f4a47b2, v8 :: v_dual_sub_f32 v11, v13, v11
	s_delay_alu instid0(VALU_DEP_3) | instskip(NEXT) | instid1(VALU_DEP_3)
	v_dual_add_f32 v13, v13, v43 :: v_dual_fmac_f32 v48, 0xbee1c552, v12
	v_fmac_f32_e32 v45, 0xbee1c552, v12
	v_fma_f32 v31, v56, v69, -v41
	s_delay_alu instid0(VALU_DEP_4) | instskip(NEXT) | instid1(VALU_DEP_4)
	v_mul_f32_e32 v43, 0x3d64c772, v11
	v_add_f32_e32 v47, v47, v13
	v_fmamk_f32 v11, v11, 0x3d64c772, v8
	v_fma_f32 v8, 0xbf3bfb3b, v44, -v8
	s_delay_alu instid0(VALU_DEP_4) | instskip(NEXT) | instid1(VALU_DEP_4)
	v_fma_f32 v43, 0x3f3bfb3b, v44, -v43
	v_fmamk_f32 v13, v13, 0xbf955555, v47
	s_delay_alu instid0(VALU_DEP_1) | instskip(NEXT) | instid1(VALU_DEP_1)
	v_add_f32_e32 v11, v11, v13
	v_add_f32_e32 v0, v48, v11
	;; [unrolled: 1-line block ×4, first 2 shown]
	v_sub_f32_e32 v11, v11, v48
	s_delay_alu instid0(VALU_DEP_3) | instskip(NEXT) | instid1(VALU_DEP_3)
	v_add_f32_e32 v13, v45, v8
	v_dual_sub_f32 v41, v12, v14 :: v_dual_add_f32 v12, v14, v12
	v_sub_f32_e32 v8, v8, v45
	ds_store_2addr_b32 v22, v47, v0 offset1:17
	ds_store_2addr_b32 v22, v13, v41 offset0:34 offset1:51
	ds_store_2addr_b32 v22, v12, v8 offset0:68 offset1:85
	ds_store_b32 v22, v11 offset:408
	s_and_saveexec_b32 s1, s0
	s_cbranch_execz .LBB0_23
; %bb.22:
	v_dual_add_f32 v0, v18, v26 :: v_dual_add_f32 v11, v23, v24
	v_dual_add_f32 v8, v17, v25 :: v_dual_sub_f32 v13, v30, v27
	v_sub_f32_e32 v12, v28, v19
	v_sub_f32_e32 v41, v29, v31
	s_delay_alu instid0(VALU_DEP_3) | instskip(SKIP_2) | instid1(VALU_DEP_2)
	v_sub_f32_e32 v43, v11, v8
	v_add_f32_e32 v14, v8, v0
	v_sub_f32_e32 v42, v0, v11
	v_dual_sub_f32 v44, v12, v13 :: v_dual_add_f32 v11, v11, v14
	v_sub_f32_e32 v14, v13, v41
	s_delay_alu instid0(VALU_DEP_3) | instskip(SKIP_1) | instid1(VALU_DEP_4)
	v_dual_add_f32 v13, v13, v41 :: v_dual_mul_f32 v42, 0x3f4a47b2, v42
	v_sub_f32_e32 v41, v41, v12
	v_dual_add_f32 v7, v7, v11 :: v_dual_sub_f32 v0, v8, v0
	s_delay_alu instid0(VALU_DEP_3) | instskip(NEXT) | instid1(VALU_DEP_3)
	v_dual_mul_f32 v8, 0x3d64c772, v43 :: v_dual_fmamk_f32 v43, v43, 0x3d64c772, v42
	v_mul_f32_e32 v45, 0xbf5ff5aa, v41
	s_delay_alu instid0(VALU_DEP_3) | instskip(SKIP_2) | instid1(VALU_DEP_4)
	v_dual_fmamk_f32 v11, v11, 0xbf955555, v7 :: v_dual_add_f32 v12, v13, v12
	v_mul_f32_e32 v14, 0x3f08b237, v14
	v_fma_f32 v13, 0xbf3bfb3b, v0, -v42
	v_fma_f32 v42, 0x3eae86e6, v44, -v45
	s_delay_alu instid0(VALU_DEP_4) | instskip(SKIP_4) | instid1(VALU_DEP_3)
	v_add_f32_e32 v43, v43, v11
	v_fma_f32 v0, 0x3f3bfb3b, v0, -v8
	v_fma_f32 v41, 0xbf5ff5aa, v41, -v14
	v_dual_fmamk_f32 v8, v44, 0xbeae86e6, v14 :: v_dual_add_f32 v13, v13, v11
	v_fmac_f32_e32 v42, 0xbee1c552, v12
	v_dual_add_f32 v0, v0, v11 :: v_dual_fmac_f32 v41, 0xbee1c552, v12
	s_delay_alu instid0(VALU_DEP_3) | instskip(SKIP_1) | instid1(VALU_DEP_4)
	v_fmac_f32_e32 v8, 0xbee1c552, v12
	v_mul_u32_u24_e32 v11, 0x1dc, v21
	v_dual_sub_f32 v12, v13, v42 :: v_dual_add_f32 v13, v42, v13
	s_delay_alu instid0(VALU_DEP_4) | instskip(NEXT) | instid1(VALU_DEP_4)
	v_sub_f32_e32 v14, v0, v41
	v_add_f32_e32 v44, v8, v43
	s_delay_alu instid0(VALU_DEP_4)
	v_add3_u32 v11, 0, v11, v20
	v_add_f32_e32 v0, v41, v0
	v_sub_f32_e32 v8, v43, v8
	ds_store_2addr_b32 v11, v7, v44 offset1:17
	ds_store_2addr_b32 v11, v13, v14 offset0:34 offset1:51
	ds_store_2addr_b32 v11, v0, v12 offset0:68 offset1:85
	ds_store_b32 v11, v8 offset:408
.LBB0_23:
	s_wait_alu 0xfffe
	s_or_b32 exec_lo, exec_lo, s1
	v_dual_add_f32 v7, v39, v16 :: v_dual_sub_f32 v8, v33, v37
	v_dual_add_f32 v10, v10, v15 :: v_dual_sub_f32 v11, v32, v36
	v_sub_f32_e32 v12, v35, v34
	v_add_f32_e32 v0, v38, v40
	global_wb scope:SCOPE_SE
	s_wait_dscnt 0x0
	s_barrier_signal -1
	s_barrier_wait -1
	v_add_f32_e32 v15, v12, v11
	v_add_f32_e32 v13, v7, v0
	v_sub_f32_e32 v14, v7, v0
	v_dual_sub_f32 v0, v0, v10 :: v_dual_sub_f32 v7, v10, v7
	global_inv scope:SCOPE_SE
	v_dual_add_f32 v10, v10, v13 :: v_dual_sub_f32 v13, v12, v11
	v_sub_f32_e32 v11, v11, v8
	v_sub_f32_e32 v12, v8, v12
	s_delay_alu instid0(VALU_DEP_3) | instskip(NEXT) | instid1(VALU_DEP_4)
	v_dual_add_f32 v32, v15, v8 :: v_dual_add_f32 v33, v9, v10
	v_mul_f32_e32 v9, 0x3f08b237, v13
	s_delay_alu instid0(VALU_DEP_1) | instskip(NEXT) | instid1(VALU_DEP_1)
	v_fma_f32 v35, 0xbf5ff5aa, v11, -v9
	v_fmac_f32_e32 v35, 0xbee1c552, v32
	s_delay_alu instid0(VALU_DEP_4) | instskip(SKIP_1) | instid1(VALU_DEP_1)
	v_fmamk_f32 v10, v10, 0xbf955555, v33
	v_mul_f32_e32 v0, 0x3f4a47b2, v0
	v_dual_mul_f32 v8, 0x3d64c772, v7 :: v_dual_fmamk_f32 v7, v7, 0x3d64c772, v0
	s_delay_alu instid0(VALU_DEP_1) | instskip(NEXT) | instid1(VALU_DEP_1)
	v_fma_f32 v8, 0x3f3bfb3b, v14, -v8
	v_dual_mul_f32 v13, 0xbf5ff5aa, v11 :: v_dual_add_f32 v38, v8, v10
	s_delay_alu instid0(VALU_DEP_1) | instskip(NEXT) | instid1(VALU_DEP_2)
	v_fma_f32 v36, 0x3eae86e6, v12, -v13
	v_add_f32_e32 v41, v35, v38
	v_add_f32_e32 v37, v7, v10
	v_fma_f32 v0, 0xbf3bfb3b, v14, -v0
	s_delay_alu instid0(VALU_DEP_1) | instskip(SKIP_1) | instid1(VALU_DEP_2)
	v_dual_fmac_f32 v36, 0xbee1c552, v32 :: v_dual_add_f32 v39, v0, v10
	v_add_nc_u32_e32 v0, 0x200, v59
	v_dual_sub_f32 v40, v39, v36 :: v_dual_add_nc_u32 v11, 0xa00, v59
	v_add_f32_e32 v36, v36, v39
	v_dual_fmamk_f32 v34, v12, 0xbeae86e6, v9 :: v_dual_sub_f32 v35, v38, v35
	s_delay_alu instid0(VALU_DEP_1) | instskip(SKIP_1) | instid1(VALU_DEP_2)
	v_fmac_f32_e32 v34, 0xbee1c552, v32
	v_add_nc_u32_e32 v9, 0x600, v59
	v_dual_sub_f32 v32, v37, v34 :: v_dual_add_nc_u32 v15, 0xe00, v59
	v_add_f32_e32 v34, v34, v37
	ds_load_2addr_b32 v[7:8], v59 offset1:119
	ds_load_2addr_b32 v[13:14], v0 offset0:110 offset1:229
	ds_load_2addr_b32 v[9:10], v9 offset0:92 offset1:211
	ds_load_2addr_b32 v[11:12], v11 offset0:74 offset1:193
	ds_load_2addr_b32 v[15:16], v15 offset0:56 offset1:175
	ds_load_b32 v0, v59 offset:4760
	global_wb scope:SCOPE_SE
	s_wait_dscnt 0x0
	s_barrier_signal -1
	s_barrier_wait -1
	global_inv scope:SCOPE_SE
	ds_store_2addr_b32 v22, v33, v32 offset1:17
	ds_store_2addr_b32 v22, v40, v41 offset0:34 offset1:51
	ds_store_2addr_b32 v22, v35, v36 offset0:68 offset1:85
	ds_store_b32 v22, v34 offset:408
	s_and_saveexec_b32 s1, s0
	s_cbranch_execz .LBB0_25
; %bb.24:
	v_dual_add_f32 v19, v28, v19 :: v_dual_sub_f32 v18, v18, v26
	v_dual_add_f32 v26, v27, v30 :: v_dual_sub_f32 v17, v17, v25
	v_add_f32_e32 v22, v29, v31
	v_sub_f32_e32 v23, v24, v23
	s_delay_alu instid0(VALU_DEP_2) | instskip(SKIP_2) | instid1(VALU_DEP_4)
	v_add_f32_e32 v24, v22, v19
	v_sub_f32_e32 v25, v22, v19
	v_sub_f32_e32 v19, v19, v26
	v_dual_sub_f32 v22, v26, v22 :: v_dual_add_f32 v27, v23, v17
	s_delay_alu instid0(VALU_DEP_4) | instskip(SKIP_1) | instid1(VALU_DEP_3)
	v_add_f32_e32 v24, v26, v24
	v_dual_sub_f32 v26, v23, v17 :: v_dual_sub_f32 v17, v17, v18
	v_dual_sub_f32 v23, v18, v23 :: v_dual_add_f32 v18, v27, v18
	s_delay_alu instid0(VALU_DEP_3) | instskip(NEXT) | instid1(VALU_DEP_1)
	v_dual_add_f32 v27, v53, v24 :: v_dual_mul_f32 v28, 0x3d64c772, v22
	v_fmamk_f32 v24, v24, 0xbf955555, v27
	v_mul_f32_e32 v19, 0x3f4a47b2, v19
	s_delay_alu instid0(VALU_DEP_3) | instskip(SKIP_1) | instid1(VALU_DEP_3)
	v_fma_f32 v28, 0x3f3bfb3b, v25, -v28
	v_mul_f32_e32 v29, 0xbf5ff5aa, v17
	v_fmamk_f32 v22, v22, 0x3d64c772, v19
	s_delay_alu instid0(VALU_DEP_1) | instskip(SKIP_1) | instid1(VALU_DEP_1)
	v_add_f32_e32 v22, v22, v24
	v_fma_f32 v19, 0xbf3bfb3b, v25, -v19
	v_dual_mul_f32 v26, 0x3f08b237, v26 :: v_dual_add_f32 v19, v19, v24
	s_delay_alu instid0(VALU_DEP_1) | instskip(NEXT) | instid1(VALU_DEP_1)
	v_fma_f32 v17, 0xbf5ff5aa, v17, -v26
	v_fmac_f32_e32 v17, 0xbee1c552, v18
	v_dual_fmamk_f32 v25, v23, 0xbeae86e6, v26 :: v_dual_add_f32 v26, v28, v24
	v_fma_f32 v23, 0x3eae86e6, v23, -v29
	s_delay_alu instid0(VALU_DEP_2) | instskip(NEXT) | instid1(VALU_DEP_2)
	v_add_f32_e32 v28, v17, v26
	v_fmac_f32_e32 v23, 0xbee1c552, v18
	s_delay_alu instid0(VALU_DEP_4) | instskip(SKIP_1) | instid1(VALU_DEP_2)
	v_fmac_f32_e32 v25, 0xbee1c552, v18
	v_mul_u32_u24_e32 v18, 0x1dc, v21
	v_dual_sub_f32 v24, v19, v23 :: v_dual_sub_f32 v21, v22, v25
	s_delay_alu instid0(VALU_DEP_2)
	v_add3_u32 v18, 0, v18, v20
	v_dual_sub_f32 v17, v26, v17 :: v_dual_add_f32 v20, v25, v22
	v_add_f32_e32 v19, v23, v19
	ds_store_2addr_b32 v18, v27, v21 offset1:17
	ds_store_2addr_b32 v18, v24, v28 offset0:34 offset1:51
	ds_store_2addr_b32 v18, v17, v19 offset0:68 offset1:85
	ds_store_b32 v18, v20 offset:408
.LBB0_25:
	s_wait_alu 0xfffe
	s_or_b32 exec_lo, exec_lo, s1
	global_wb scope:SCOPE_SE
	s_wait_dscnt 0x0
	s_barrier_signal -1
	s_barrier_wait -1
	global_inv scope:SCOPE_SE
	s_and_saveexec_b32 s0, vcc_lo
	s_cbranch_execz .LBB0_27
; %bb.26:
	v_mul_u32_u24_e32 v6, 10, v6
	v_mul_lo_u32 v39, s3, v4
	v_mul_lo_u32 v40, s2, v5
	v_mad_co_u64_u32 v[37:38], null, s2, v4, 0
	s_delay_alu instid0(VALU_DEP_4)
	v_lshlrev_b32_e32 v6, 3, v6
	v_dual_mov_b32 v4, 0 :: v_dual_add_nc_u32 v41, 0x200, v59
	v_lshlrev_b64_e32 v[1:2], 3, v[1:2]
	s_clause 0x4
	global_load_b128 v[17:20], v6, s[8:9] offset:816
	global_load_b128 v[21:24], v6, s[8:9] offset:880
	;; [unrolled: 1-line block ×5, first 2 shown]
	v_add3_u32 v38, v38, v40, v39
	v_lshlrev_b64_e32 v[3:4], 3, v[3:4]
	v_add_nc_u32_e32 v42, 0xe00, v59
	v_add_nc_u32_e32 v43, 0x600, v59
	ds_load_2addr_b32 v[5:6], v59 offset1:119
	ds_load_b32 v45, v59 offset:4760
	v_lshlrev_b64_e32 v[37:38], 3, v[37:38]
	v_add_nc_u32_e32 v46, 0xa00, v59
	s_delay_alu instid0(VALU_DEP_2) | instskip(SKIP_1) | instid1(VALU_DEP_3)
	v_add_co_u32 v37, vcc_lo, s6, v37
	s_wait_alu 0xfffd
	v_add_co_ci_u32_e32 v38, vcc_lo, s7, v38, vcc_lo
	s_delay_alu instid0(VALU_DEP_2) | instskip(SKIP_1) | instid1(VALU_DEP_2)
	v_add_co_u32 v37, vcc_lo, v37, v1
	s_wait_alu 0xfffd
	v_add_co_ci_u32_e32 v38, vcc_lo, v38, v2, vcc_lo
	s_delay_alu instid0(VALU_DEP_2) | instskip(SKIP_1) | instid1(VALU_DEP_2)
	v_add_co_u32 v3, vcc_lo, v37, v3
	s_wait_alu 0xfffd
	v_add_co_ci_u32_e32 v4, vcc_lo, v38, v4, vcc_lo
	s_wait_loadcnt 0x4
	v_mul_f32_e32 v37, v8, v17
	s_wait_loadcnt 0x3
	v_mul_f32_e32 v38, v0, v23
	v_mul_f32_e32 v0, v0, v24
	;; [unrolled: 1-line block ×3, first 2 shown]
	ds_load_2addr_b32 v[39:40], v41 offset0:110 offset1:229
	ds_load_2addr_b32 v[41:42], v42 offset0:56 offset1:175
	;; [unrolled: 1-line block ×4, first 2 shown]
	s_wait_loadcnt 0x1
	v_dual_mul_f32 v46, v13, v19 :: v_dual_mul_f32 v51, v12, v29
	v_dual_mul_f32 v8, v8, v18 :: v_dual_mul_f32 v49, v15, v31
	;; [unrolled: 1-line block ×3, first 2 shown]
	s_wait_loadcnt 0x0
	v_mul_f32_e32 v53, v11, v35
	v_mul_f32_e32 v15, v15, v32
	s_wait_dscnt 0x4
	v_fmac_f32_e32 v38, v45, v24
	v_mul_f32_e32 v16, v16, v22
	v_dual_mul_f32 v14, v14, v26 :: v_dual_mul_f32 v11, v11, v36
	v_dual_mul_f32 v50, v9, v27 :: v_dual_fmac_f32 v37, v6, v18
	v_mul_f32_e32 v12, v12, v30
	v_mul_f32_e32 v52, v10, v33
	s_wait_dscnt 0x2
	v_dual_fmac_f32 v46, v39, v20 :: v_dual_fmac_f32 v47, v42, v22
	v_fma_f32 v23, v45, v23, -v0
	s_wait_dscnt 0x0
	v_fmac_f32_e32 v51, v2, v30
	v_fma_f32 v0, v6, v17, -v8
	v_fma_f32 v6, v39, v19, -v13
	v_dual_fmac_f32 v48, v40, v26 :: v_dual_sub_f32 v13, v46, v47
	v_dual_fmac_f32 v49, v41, v32 :: v_dual_mul_f32 v10, v10, v34
	v_mul_f32_e32 v9, v9, v28
	v_fma_f32 v21, v42, v21, -v16
	v_fma_f32 v17, v41, v31, -v15
	s_delay_alu instid0(VALU_DEP_4)
	v_dual_sub_f32 v15, v48, v49 :: v_dual_fmac_f32 v50, v43, v28
	v_dual_fmac_f32 v53, v1, v36 :: v_dual_fmac_f32 v52, v44, v34
	v_fma_f32 v1, v1, v35, -v11
	v_fma_f32 v10, v44, v33, -v10
	;; [unrolled: 1-line block ×5, first 2 shown]
	v_sub_f32_e32 v27, v6, v21
	v_dual_sub_f32 v11, v37, v38 :: v_dual_add_f32 v12, v0, v23
	v_dual_add_f32 v14, v6, v21 :: v_dual_sub_f32 v25, v0, v23
	v_dual_sub_f32 v18, v50, v51 :: v_dual_sub_f32 v29, v8, v17
	s_delay_alu instid0(VALU_DEP_3)
	v_dual_sub_f32 v20, v52, v53 :: v_dual_mul_f32 v35, 0xbf68dda4, v11
	v_dual_add_f32 v24, v37, v38 :: v_dual_sub_f32 v33, v10, v1
	v_dual_add_f32 v16, v8, v17 :: v_dual_sub_f32 v31, v9, v2
	v_dual_add_f32 v19, v9, v2 :: v_dual_add_f32 v22, v10, v1
	v_dual_add_f32 v32, v52, v53 :: v_dual_mul_f32 v67, 0xbe903f40, v18
	v_dual_add_f32 v0, v0, v5 :: v_dual_mul_f32 v77, 0x3f68dda4, v18
	v_dual_add_f32 v34, v7, v37 :: v_dual_mul_f32 v85, 0x3ed4b147, v14
	v_mul_f32_e32 v36, 0xbf4178ce, v13
	v_mul_f32_e32 v37, 0x3e903f40, v15
	v_dual_mul_f32 v40, 0x3f0a6770, v20 :: v_dual_mul_f32 v45, 0x3f0a6770, v33
	v_dual_mul_f32 v54, 0xbf7d64f0, v11 :: v_dual_mul_f32 v59, 0xbf7d64f0, v25
	;; [unrolled: 1-line block ×4, first 2 shown]
	v_mul_f32_e32 v74, 0xbe903f40, v11
	v_dual_mul_f32 v84, 0x3f575c64, v12 :: v_dual_fmamk_f32 v91, v22, 0x3f575c64, v40
	v_dual_add_f32 v26, v46, v47 :: v_dual_mul_f32 v39, 0x3f7d64f0, v18
	v_dual_add_f32 v28, v48, v49 :: v_dual_mul_f32 v57, 0xbf0a6770, v18
	;; [unrolled: 1-line block ×3, first 2 shown]
	v_dual_mul_f32 v42, 0xbf4178ce, v27 :: v_dual_mul_f32 v63, 0xbf4178ce, v33
	v_dual_mul_f32 v44, 0x3f7d64f0, v31 :: v_dual_mul_f32 v65, 0x3f7d64f0, v13
	v_dual_mul_f32 v55, 0x3e903f40, v13 :: v_dual_add_f32 v0, v0, v6
	v_dual_mul_f32 v56, 0x3f68dda4, v15 :: v_dual_mul_f32 v61, 0x3f68dda4, v29
	v_dual_mul_f32 v62, 0xbf0a6770, v31 :: v_dual_mul_f32 v71, 0xbf0a6770, v29
	v_mul_f32_e32 v66, 0xbf0a6770, v15
	v_dual_mul_f32 v68, 0x3f68dda4, v20 :: v_dual_mul_f32 v73, 0x3f68dda4, v33
	v_dual_mul_f32 v72, 0xbe903f40, v31 :: v_dual_mul_f32 v79, 0xbe903f40, v25
	;; [unrolled: 1-line block ×3, first 2 shown]
	v_dual_mul_f32 v87, 0xbf27a4f4, v19 :: v_dual_add_f32 v6, v34, v46
	v_mul_f32_e32 v25, 0xbf0a6770, v25
	v_mul_f32_e32 v33, 0xbe903f40, v33
	v_dual_fmamk_f32 v34, v12, 0x3ed4b147, v35 :: v_dual_fmamk_f32 v109, v22, 0x3ed4b147, v68
	v_fmamk_f32 v96, v12, 0xbe11bafb, v54
	v_dual_fmamk_f32 v108, v19, 0xbf75a155, v67 :: v_dual_fmamk_f32 v113, v12, 0xbf75a155, v74
	v_fma_f32 v110, 0xbf27a4f4, v24, -v69
	v_fma_f32 v74, 0xbf75a155, v12, -v74
	;; [unrolled: 1-line block ×3, first 2 shown]
	v_fmamk_f32 v105, v12, 0xbf27a4f4, v64
	v_fma_f32 v64, 0xbf27a4f4, v12, -v64
	v_fma_f32 v12, 0x3ed4b147, v12, -v35
	v_dual_fmamk_f32 v35, v11, 0x3f0a6770, v84 :: v_dual_add_f32 v0, v0, v8
	v_fmac_f32_e32 v84, 0xbf0a6770, v11
	v_mul_f32_e32 v82, 0x3f68dda4, v31
	v_mul_f32_e32 v31, 0xbf4178ce, v31
	v_dual_fmamk_f32 v46, v14, 0xbf27a4f4, v36 :: v_dual_fmac_f32 v69, 0xbf27a4f4, v24
	v_dual_mul_f32 v43, 0x3e903f40, v29 :: v_dual_mul_f32 v60, 0x3e903f40, v27
	v_dual_mul_f32 v75, 0x3f0a6770, v13 :: v_dual_mul_f32 v80, 0x3f0a6770, v27
	v_dual_mul_f32 v76, 0xbf4178ce, v15 :: v_dual_add_f32 v113, v5, v113
	v_dual_mul_f32 v86, 0xbe11bafb, v16 :: v_dual_add_f32 v35, v5, v35
	v_fma_f32 v92, 0x3ed4b147, v24, -v41
	v_dual_fmamk_f32 v97, v14, 0xbf75a155, v55 :: v_dual_add_f32 v74, v5, v74
	v_dual_fmamk_f32 v98, v16, 0x3ed4b147, v56 :: v_dual_fmac_f32 v41, 0x3ed4b147, v24
	v_dual_fmamk_f32 v99, v19, 0x3f575c64, v57 :: v_dual_add_f32 v64, v5, v64
	v_fma_f32 v101, 0xbe11bafb, v24, -v59
	v_dual_fmamk_f32 v107, v16, 0x3f575c64, v66 :: v_dual_add_f32 v12, v5, v12
	v_add_f32_e32 v34, v5, v34
	v_add_f32_e32 v54, v5, v54
	v_dual_mul_f32 v70, 0x3f7d64f0, v27 :: v_dual_add_f32 v105, v5, v105
	v_mul_f32_e32 v27, 0xbf68dda4, v27
	v_fmac_f32_e32 v59, 0xbe11bafb, v24
	v_dual_mul_f32 v29, 0xbf7d64f0, v29 :: v_dual_add_f32 v96, v5, v96
	v_dual_fmamk_f32 v114, v24, 0x3f575c64, v25 :: v_dual_add_f32 v69, v7, v69
	s_delay_alu instid0(VALU_DEP_3)
	v_add_f32_e32 v59, v7, v59
	v_add_f32_e32 v5, v5, v84
	v_fma_f32 v84, 0xbf75a155, v24, -v79
	v_dual_fmac_f32 v79, 0xbf75a155, v24 :: v_dual_add_f32 v110, v7, v110
	v_fma_f32 v24, 0x3f575c64, v24, -v25
	v_dual_mul_f32 v88, 0xbf75a155, v22 :: v_dual_fmamk_f32 v89, v16, 0xbf75a155, v37
	v_fmamk_f32 v90, v19, 0xbe11bafb, v39
	v_dual_fmamk_f32 v100, v22, 0xbf27a4f4, v58 :: v_dual_add_f32 v101, v7, v101
	v_dual_fmamk_f32 v106, v14, 0xbe11bafb, v65 :: v_dual_add_f32 v79, v7, v79
	v_fma_f32 v111, 0xbe11bafb, v26, -v70
	v_dual_add_f32 v92, v7, v92 :: v_dual_fmamk_f32 v115, v16, 0xbf27a4f4, v76
	v_add_f32_e32 v84, v7, v84
	v_add_f32_e32 v41, v7, v41
	;; [unrolled: 1-line block ×3, first 2 shown]
	v_dual_add_f32 v7, v7, v24 :: v_dual_fmamk_f32 v24, v14, 0x3f575c64, v75
	v_fma_f32 v75, 0x3f575c64, v14, -v75
	v_fma_f32 v65, 0xbe11bafb, v14, -v65
	v_fma_f32 v55, 0xbf75a155, v14, -v55
	v_fma_f32 v14, 0xbf27a4f4, v14, -v36
	v_fmamk_f32 v36, v19, 0x3ed4b147, v77
	v_fma_f32 v77, 0x3ed4b147, v19, -v77
	v_fma_f32 v67, 0xbf75a155, v19, -v67
	;; [unrolled: 1-line block ×5, first 2 shown]
	v_fmac_f32_e32 v80, 0x3f575c64, v26
	v_fmac_f32_e32 v70, 0xbe11bafb, v26
	v_add_f32_e32 v6, v6, v48
	v_fmamk_f32 v48, v13, 0x3f68dda4, v85
	v_fmac_f32_e32 v85, 0xbf68dda4, v13
	v_fmamk_f32 v13, v15, 0x3f7d64f0, v86
	v_fmac_f32_e32 v86, 0xbf7d64f0, v15
	v_dual_fmamk_f32 v15, v18, 0x3f4178ce, v87 :: v_dual_add_f32 v0, v0, v9
	v_add_f32_e32 v9, v34, v46
	v_fma_f32 v93, 0xbf27a4f4, v26, -v42
	v_fma_f32 v94, 0xbf75a155, v28, -v43
	;; [unrolled: 1-line block ×12, first 2 shown]
	v_fmamk_f32 v37, v22, 0xbe11bafb, v78
	v_fma_f32 v78, 0xbe11bafb, v22, -v78
	v_fma_f32 v68, 0x3ed4b147, v22, -v68
	;; [unrolled: 1-line block ×6, first 2 shown]
	v_fmac_f32_e32 v81, 0xbf27a4f4, v28
	v_dual_fmac_f32 v82, 0x3ed4b147, v30 :: v_dual_fmac_f32 v61, 0x3ed4b147, v28
	v_dual_fmac_f32 v71, 0x3f575c64, v28 :: v_dual_fmac_f32 v62, 0x3f575c64, v30
	;; [unrolled: 1-line block ×3, first 2 shown]
	v_fmac_f32_e32 v60, 0xbf75a155, v26
	v_fmac_f32_e32 v42, 0xbf27a4f4, v26
	v_dual_fmac_f32 v44, 0xbe11bafb, v30 :: v_dual_add_f32 v39, v84, v39
	v_dual_fmac_f32 v87, 0xbf4178ce, v18 :: v_dual_add_f32 v34, v96, v97
	v_fmamk_f32 v116, v20, 0x3e903f40, v88
	v_dual_fmac_f32 v88, 0xbe903f40, v20 :: v_dual_add_f32 v5, v5, v85
	v_fma_f32 v20, 0x3ed4b147, v26, -v27
	v_dual_add_f32 v74, v74, v75 :: v_dual_add_f32 v75, v79, v80
	v_dual_fmamk_f32 v18, v26, 0x3ed4b147, v27 :: v_dual_add_f32 v35, v35, v48
	s_delay_alu instid0(VALU_DEP_3)
	v_dual_fmamk_f32 v26, v28, 0xbe11bafb, v29 :: v_dual_add_f32 v7, v7, v20
	v_fma_f32 v27, 0xbe11bafb, v28, -v29
	v_dual_fmamk_f32 v28, v30, 0xbf27a4f4, v31 :: v_dual_add_f32 v9, v9, v89
	v_fma_f32 v29, 0xbf27a4f4, v30, -v31
	v_fma_f32 v30, 0xbe11bafb, v32, -v83
	v_dual_fmac_f32 v83, 0xbe11bafb, v32 :: v_dual_add_f32 v64, v64, v65
	v_add_f32_e32 v65, v69, v70
	v_fma_f32 v25, 0x3ed4b147, v32, -v73
	v_dual_fmac_f32 v73, 0x3ed4b147, v32 :: v_dual_add_f32 v6, v6, v50
	v_fma_f32 v31, 0xbf27a4f4, v32, -v63
	v_fmac_f32_e32 v63, 0xbf27a4f4, v32
	v_fma_f32 v117, 0x3f575c64, v32, -v45
	v_dual_fmac_f32 v45, 0x3f575c64, v32 :: v_dual_add_f32 v46, v101, v102
	v_fmamk_f32 v118, v32, 0xbf75a155, v33
	v_fma_f32 v32, 0xbf75a155, v32, -v33
	v_dual_add_f32 v33, v92, v93 :: v_dual_add_f32 v92, v110, v111
	v_dual_add_f32 v39, v39, v40 :: v_dual_add_f32 v48, v65, v71
	v_add_f32_e32 v50, v105, v106
	v_dual_add_f32 v24, v113, v24 :: v_dual_add_f32 v13, v35, v13
	v_add_f32_e32 v0, v0, v10
	v_add_f32_e32 v6, v6, v52
	;; [unrolled: 1-line block ×3, first 2 shown]
	v_dual_add_f32 v10, v33, v94 :: v_dual_add_f32 v35, v48, v72
	v_dual_add_f32 v14, v41, v42 :: v_dual_add_f32 v33, v46, v103
	;; [unrolled: 1-line block ×4, first 2 shown]
	s_delay_alu instid0(VALU_DEP_2)
	v_add_f32_e32 v11, v41, v11
	v_dual_add_f32 v41, v13, v15 :: v_dual_add_f32 v0, v0, v1
	v_dual_add_f32 v1, v6, v53 :: v_dual_add_f32 v12, v12, v16
	v_dual_add_f32 v13, v35, v73 :: v_dual_add_f32 v16, v18, v26
	v_dual_add_f32 v6, v7, v27 :: v_dual_add_f32 v7, v9, v90
	v_add_f32_e32 v9, v10, v95
	v_add_f32_e32 v14, v14, v43
	;; [unrolled: 1-line block ×3, first 2 shown]
	v_dual_add_f32 v42, v75, v81 :: v_dual_add_f32 v43, v5, v87
	v_dual_add_f32 v54, v54, v55 :: v_dual_add_f32 v27, v40, v77
	v_add_f32_e32 v55, v59, v60
	s_delay_alu instid0(VALU_DEP_4) | instskip(NEXT) | instid1(VALU_DEP_4)
	v_add_f32_e32 v5, v18, v31
	v_dual_add_f32 v24, v24, v115 :: v_dual_add_f32 v33, v42, v82
	v_dual_add_f32 v20, v34, v98 :: v_dual_add_f32 v19, v12, v19
	s_delay_alu instid0(VALU_DEP_4)
	v_add_f32_e32 v52, v55, v61
	v_add_f32_e32 v34, v50, v107
	;; [unrolled: 1-line block ×12, first 2 shown]
	s_delay_alu instid0(VALU_DEP_4) | instskip(SKIP_2) | instid1(VALU_DEP_4)
	v_dual_add_f32 v40, v14, v44 :: v_dual_add_f32 v15, v39, v63
	v_add_f32_e32 v28, v16, v28
	v_add_f32_e32 v12, v27, v78
	;; [unrolled: 1-line block ×3, first 2 shown]
	s_delay_alu instid0(VALU_DEP_3) | instskip(SKIP_3) | instid1(VALU_DEP_3)
	v_dual_add_f32 v22, v43, v88 :: v_dual_add_f32 v19, v28, v118
	v_dual_add_f32 v46, v64, v66 :: v_dual_add_f32 v29, v6, v29
	v_add_f32_e32 v10, v20, v99
	v_add_f32_e32 v20, v34, v108
	;; [unrolled: 1-line block ×3, first 2 shown]
	s_delay_alu instid0(VALU_DEP_3) | instskip(SKIP_2) | instid1(VALU_DEP_4)
	v_add_f32_e32 v6, v10, v100
	v_add_f32_e32 v10, v24, v37
	;; [unrolled: 1-line block ×6, first 2 shown]
	s_delay_alu instid0(VALU_DEP_4) | instskip(SKIP_2) | instid1(VALU_DEP_2)
	v_add_f32_e32 v25, v47, v24
	v_add_f32_e32 v2, v2, v0
	v_dual_add_f32 v0, v9, v117 :: v_dual_add_f32 v9, v26, v30
	v_dual_add_f32 v2, v17, v2 :: v_dual_add_f32 v17, v40, v45
	s_delay_alu instid0(VALU_DEP_1) | instskip(NEXT) | instid1(VALU_DEP_1)
	v_add_f32_e32 v2, v21, v2
	v_dual_add_f32 v21, v29, v32 :: v_dual_add_f32 v24, v23, v2
	v_add_f32_e32 v23, v38, v25
	s_clause 0xa
	global_store_b64 v[3:4], v[13:14], off offset:3808
	global_store_b64 v[3:4], v[11:12], off offset:4760
	;; [unrolled: 1-line block ×4, first 2 shown]
	global_store_b64 v[3:4], v[23:24], off
	global_store_b64 v[3:4], v[19:20], off offset:952
	global_store_b64 v[3:4], v[17:18], off offset:1904
	;; [unrolled: 1-line block ×6, first 2 shown]
.LBB0_27:
	s_nop 0
	s_sendmsg sendmsg(MSG_DEALLOC_VGPRS)
	s_endpgm
	.section	.rodata,"a",@progbits
	.p2align	6, 0x0
	.amdhsa_kernel fft_rtc_back_len1309_factors_17_7_11_wgs_119_tpt_119_halfLds_sp_op_CI_CI_unitstride_sbrr_dirReg
		.amdhsa_group_segment_fixed_size 0
		.amdhsa_private_segment_fixed_size 0
		.amdhsa_kernarg_size 104
		.amdhsa_user_sgpr_count 2
		.amdhsa_user_sgpr_dispatch_ptr 0
		.amdhsa_user_sgpr_queue_ptr 0
		.amdhsa_user_sgpr_kernarg_segment_ptr 1
		.amdhsa_user_sgpr_dispatch_id 0
		.amdhsa_user_sgpr_private_segment_size 0
		.amdhsa_wavefront_size32 1
		.amdhsa_uses_dynamic_stack 0
		.amdhsa_enable_private_segment 0
		.amdhsa_system_sgpr_workgroup_id_x 1
		.amdhsa_system_sgpr_workgroup_id_y 0
		.amdhsa_system_sgpr_workgroup_id_z 0
		.amdhsa_system_sgpr_workgroup_info 0
		.amdhsa_system_vgpr_workitem_id 0
		.amdhsa_next_free_vgpr 119
		.amdhsa_next_free_sgpr 39
		.amdhsa_reserve_vcc 1
		.amdhsa_float_round_mode_32 0
		.amdhsa_float_round_mode_16_64 0
		.amdhsa_float_denorm_mode_32 3
		.amdhsa_float_denorm_mode_16_64 3
		.amdhsa_fp16_overflow 0
		.amdhsa_workgroup_processor_mode 1
		.amdhsa_memory_ordered 1
		.amdhsa_forward_progress 0
		.amdhsa_round_robin_scheduling 0
		.amdhsa_exception_fp_ieee_invalid_op 0
		.amdhsa_exception_fp_denorm_src 0
		.amdhsa_exception_fp_ieee_div_zero 0
		.amdhsa_exception_fp_ieee_overflow 0
		.amdhsa_exception_fp_ieee_underflow 0
		.amdhsa_exception_fp_ieee_inexact 0
		.amdhsa_exception_int_div_zero 0
	.end_amdhsa_kernel
	.text
.Lfunc_end0:
	.size	fft_rtc_back_len1309_factors_17_7_11_wgs_119_tpt_119_halfLds_sp_op_CI_CI_unitstride_sbrr_dirReg, .Lfunc_end0-fft_rtc_back_len1309_factors_17_7_11_wgs_119_tpt_119_halfLds_sp_op_CI_CI_unitstride_sbrr_dirReg
                                        ; -- End function
	.section	.AMDGPU.csdata,"",@progbits
; Kernel info:
; codeLenInByte = 12148
; NumSgprs: 41
; NumVgprs: 119
; ScratchSize: 0
; MemoryBound: 0
; FloatMode: 240
; IeeeMode: 1
; LDSByteSize: 0 bytes/workgroup (compile time only)
; SGPRBlocks: 5
; VGPRBlocks: 14
; NumSGPRsForWavesPerEU: 41
; NumVGPRsForWavesPerEU: 119
; Occupancy: 12
; WaveLimiterHint : 1
; COMPUTE_PGM_RSRC2:SCRATCH_EN: 0
; COMPUTE_PGM_RSRC2:USER_SGPR: 2
; COMPUTE_PGM_RSRC2:TRAP_HANDLER: 0
; COMPUTE_PGM_RSRC2:TGID_X_EN: 1
; COMPUTE_PGM_RSRC2:TGID_Y_EN: 0
; COMPUTE_PGM_RSRC2:TGID_Z_EN: 0
; COMPUTE_PGM_RSRC2:TIDIG_COMP_CNT: 0
	.text
	.p2alignl 7, 3214868480
	.fill 96, 4, 3214868480
	.type	__hip_cuid_2b39ff093439cfdf,@object ; @__hip_cuid_2b39ff093439cfdf
	.section	.bss,"aw",@nobits
	.globl	__hip_cuid_2b39ff093439cfdf
__hip_cuid_2b39ff093439cfdf:
	.byte	0                               ; 0x0
	.size	__hip_cuid_2b39ff093439cfdf, 1

	.ident	"AMD clang version 19.0.0git (https://github.com/RadeonOpenCompute/llvm-project roc-6.4.0 25133 c7fe45cf4b819c5991fe208aaa96edf142730f1d)"
	.section	".note.GNU-stack","",@progbits
	.addrsig
	.addrsig_sym __hip_cuid_2b39ff093439cfdf
	.amdgpu_metadata
---
amdhsa.kernels:
  - .args:
      - .actual_access:  read_only
        .address_space:  global
        .offset:         0
        .size:           8
        .value_kind:     global_buffer
      - .offset:         8
        .size:           8
        .value_kind:     by_value
      - .actual_access:  read_only
        .address_space:  global
        .offset:         16
        .size:           8
        .value_kind:     global_buffer
      - .actual_access:  read_only
        .address_space:  global
        .offset:         24
        .size:           8
        .value_kind:     global_buffer
      - .actual_access:  read_only
        .address_space:  global
        .offset:         32
        .size:           8
        .value_kind:     global_buffer
      - .offset:         40
        .size:           8
        .value_kind:     by_value
      - .actual_access:  read_only
        .address_space:  global
        .offset:         48
        .size:           8
        .value_kind:     global_buffer
      - .actual_access:  read_only
        .address_space:  global
        .offset:         56
        .size:           8
        .value_kind:     global_buffer
      - .offset:         64
        .size:           4
        .value_kind:     by_value
      - .actual_access:  read_only
        .address_space:  global
        .offset:         72
        .size:           8
        .value_kind:     global_buffer
      - .actual_access:  read_only
        .address_space:  global
        .offset:         80
        .size:           8
        .value_kind:     global_buffer
      - .actual_access:  read_only
        .address_space:  global
        .offset:         88
        .size:           8
        .value_kind:     global_buffer
      - .actual_access:  write_only
        .address_space:  global
        .offset:         96
        .size:           8
        .value_kind:     global_buffer
    .group_segment_fixed_size: 0
    .kernarg_segment_align: 8
    .kernarg_segment_size: 104
    .language:       OpenCL C
    .language_version:
      - 2
      - 0
    .max_flat_workgroup_size: 119
    .name:           fft_rtc_back_len1309_factors_17_7_11_wgs_119_tpt_119_halfLds_sp_op_CI_CI_unitstride_sbrr_dirReg
    .private_segment_fixed_size: 0
    .sgpr_count:     41
    .sgpr_spill_count: 0
    .symbol:         fft_rtc_back_len1309_factors_17_7_11_wgs_119_tpt_119_halfLds_sp_op_CI_CI_unitstride_sbrr_dirReg.kd
    .uniform_work_group_size: 1
    .uses_dynamic_stack: false
    .vgpr_count:     119
    .vgpr_spill_count: 0
    .wavefront_size: 32
    .workgroup_processor_mode: 1
amdhsa.target:   amdgcn-amd-amdhsa--gfx1201
amdhsa.version:
  - 1
  - 2
...

	.end_amdgpu_metadata
